;; amdgpu-corpus repo=ROCm/rocFFT kind=compiled arch=gfx1201 opt=O3
	.text
	.amdgcn_target "amdgcn-amd-amdhsa--gfx1201"
	.amdhsa_code_object_version 6
	.protected	fft_rtc_back_len1875_factors_5_5_5_5_3_wgs_250_tpt_125_halfLds_sp_op_CI_CI_sbrr_dirReg ; -- Begin function fft_rtc_back_len1875_factors_5_5_5_5_3_wgs_250_tpt_125_halfLds_sp_op_CI_CI_sbrr_dirReg
	.globl	fft_rtc_back_len1875_factors_5_5_5_5_3_wgs_250_tpt_125_halfLds_sp_op_CI_CI_sbrr_dirReg
	.p2align	8
	.type	fft_rtc_back_len1875_factors_5_5_5_5_3_wgs_250_tpt_125_halfLds_sp_op_CI_CI_sbrr_dirReg,@function
fft_rtc_back_len1875_factors_5_5_5_5_3_wgs_250_tpt_125_halfLds_sp_op_CI_CI_sbrr_dirReg: ; @fft_rtc_back_len1875_factors_5_5_5_5_3_wgs_250_tpt_125_halfLds_sp_op_CI_CI_sbrr_dirReg
; %bb.0:
	s_clause 0x2
	s_load_b128 s[12:15], s[0:1], 0x18
	s_load_b128 s[8:11], s[0:1], 0x0
	;; [unrolled: 1-line block ×3, first 2 shown]
	v_mul_u32_u24_e32 v1, 0x20d, v0
	v_mov_b32_e32 v18, 0
	v_mov_b32_e32 v19, 0
	s_wait_kmcnt 0x0
	s_load_b64 s[18:19], s[12:13], 0x0
	s_load_b64 s[16:17], s[14:15], 0x0
	v_lshrrev_b32_e32 v40, 16, v1
	v_mov_b32_e32 v1, 0
	v_cmp_lt_u64_e64 s2, s[10:11], 2
	s_delay_alu instid0(VALU_DEP_3) | instskip(NEXT) | instid1(VALU_DEP_3)
	v_lshl_add_u32 v8, ttmp9, 1, v40
	v_mov_b32_e32 v9, v1
	s_delay_alu instid0(VALU_DEP_3)
	s_and_b32 vcc_lo, exec_lo, s2
	s_cbranch_vccnz .LBB0_8
; %bb.1:
	s_load_b64 s[2:3], s[0:1], 0x10
	v_mov_b32_e32 v18, 0
	v_mov_b32_e32 v19, 0
	s_delay_alu instid0(VALU_DEP_2)
	v_mov_b32_e32 v4, v18
	s_add_nc_u64 s[20:21], s[14:15], 8
	s_add_nc_u64 s[22:23], s[12:13], 8
	s_mov_b64 s[24:25], 1
	v_mov_b32_e32 v5, v19
	s_wait_kmcnt 0x0
	s_add_nc_u64 s[26:27], s[2:3], 8
	s_mov_b32 s3, 0
.LBB0_2:                                ; =>This Inner Loop Header: Depth=1
	s_load_b64 s[28:29], s[26:27], 0x0
                                        ; implicit-def: $vgpr6_vgpr7
	s_mov_b32 s2, exec_lo
	s_wait_kmcnt 0x0
	v_or_b32_e32 v2, s29, v9
	s_delay_alu instid0(VALU_DEP_1)
	v_cmpx_ne_u64_e32 0, v[1:2]
	s_wait_alu 0xfffe
	s_xor_b32 s30, exec_lo, s2
	s_cbranch_execz .LBB0_4
; %bb.3:                                ;   in Loop: Header=BB0_2 Depth=1
	s_cvt_f32_u32 s2, s28
	s_cvt_f32_u32 s31, s29
	s_sub_nc_u64 s[36:37], 0, s[28:29]
	s_wait_alu 0xfffe
	s_delay_alu instid0(SALU_CYCLE_1) | instskip(SKIP_1) | instid1(SALU_CYCLE_2)
	s_fmamk_f32 s2, s31, 0x4f800000, s2
	s_wait_alu 0xfffe
	v_s_rcp_f32 s2, s2
	s_delay_alu instid0(TRANS32_DEP_1) | instskip(SKIP_1) | instid1(SALU_CYCLE_2)
	s_mul_f32 s2, s2, 0x5f7ffffc
	s_wait_alu 0xfffe
	s_mul_f32 s31, s2, 0x2f800000
	s_wait_alu 0xfffe
	s_delay_alu instid0(SALU_CYCLE_2) | instskip(SKIP_1) | instid1(SALU_CYCLE_2)
	s_trunc_f32 s31, s31
	s_wait_alu 0xfffe
	s_fmamk_f32 s2, s31, 0xcf800000, s2
	s_cvt_u32_f32 s35, s31
	s_wait_alu 0xfffe
	s_delay_alu instid0(SALU_CYCLE_1) | instskip(SKIP_1) | instid1(SALU_CYCLE_2)
	s_cvt_u32_f32 s34, s2
	s_wait_alu 0xfffe
	s_mul_u64 s[38:39], s[36:37], s[34:35]
	s_wait_alu 0xfffe
	s_mul_hi_u32 s41, s34, s39
	s_mul_i32 s40, s34, s39
	s_mul_hi_u32 s2, s34, s38
	s_mul_i32 s33, s35, s38
	s_wait_alu 0xfffe
	s_add_nc_u64 s[40:41], s[2:3], s[40:41]
	s_mul_hi_u32 s31, s35, s38
	s_mul_hi_u32 s42, s35, s39
	s_add_co_u32 s2, s40, s33
	s_wait_alu 0xfffe
	s_add_co_ci_u32 s2, s41, s31
	s_mul_i32 s38, s35, s39
	s_add_co_ci_u32 s39, s42, 0
	s_wait_alu 0xfffe
	s_add_nc_u64 s[38:39], s[2:3], s[38:39]
	s_wait_alu 0xfffe
	v_add_co_u32 v2, s2, s34, s38
	s_delay_alu instid0(VALU_DEP_1) | instskip(SKIP_1) | instid1(VALU_DEP_1)
	s_cmp_lg_u32 s2, 0
	s_add_co_ci_u32 s35, s35, s39
	v_readfirstlane_b32 s34, v2
	s_wait_alu 0xfffe
	s_delay_alu instid0(VALU_DEP_1)
	s_mul_u64 s[36:37], s[36:37], s[34:35]
	s_wait_alu 0xfffe
	s_mul_hi_u32 s39, s34, s37
	s_mul_i32 s38, s34, s37
	s_mul_hi_u32 s2, s34, s36
	s_mul_i32 s33, s35, s36
	s_wait_alu 0xfffe
	s_add_nc_u64 s[38:39], s[2:3], s[38:39]
	s_mul_hi_u32 s31, s35, s36
	s_mul_hi_u32 s34, s35, s37
	s_wait_alu 0xfffe
	s_add_co_u32 s2, s38, s33
	s_add_co_ci_u32 s2, s39, s31
	s_mul_i32 s36, s35, s37
	s_add_co_ci_u32 s37, s34, 0
	s_wait_alu 0xfffe
	s_add_nc_u64 s[36:37], s[2:3], s[36:37]
	s_wait_alu 0xfffe
	v_add_co_u32 v6, s2, v2, s36
	s_delay_alu instid0(VALU_DEP_1) | instskip(SKIP_1) | instid1(VALU_DEP_1)
	s_cmp_lg_u32 s2, 0
	s_add_co_ci_u32 s2, s35, s37
	v_mul_hi_u32 v12, v8, v6
	s_wait_alu 0xfffe
	v_mad_co_u64_u32 v[2:3], null, v8, s2, 0
	v_mad_co_u64_u32 v[6:7], null, v9, v6, 0
	;; [unrolled: 1-line block ×3, first 2 shown]
	s_delay_alu instid0(VALU_DEP_3) | instskip(SKIP_1) | instid1(VALU_DEP_4)
	v_add_co_u32 v2, vcc_lo, v12, v2
	s_wait_alu 0xfffd
	v_add_co_ci_u32_e32 v3, vcc_lo, 0, v3, vcc_lo
	s_delay_alu instid0(VALU_DEP_2) | instskip(SKIP_1) | instid1(VALU_DEP_2)
	v_add_co_u32 v2, vcc_lo, v2, v6
	s_wait_alu 0xfffd
	v_add_co_ci_u32_e32 v2, vcc_lo, v3, v7, vcc_lo
	s_wait_alu 0xfffd
	v_add_co_ci_u32_e32 v3, vcc_lo, 0, v11, vcc_lo
	s_delay_alu instid0(VALU_DEP_2) | instskip(SKIP_1) | instid1(VALU_DEP_2)
	v_add_co_u32 v6, vcc_lo, v2, v10
	s_wait_alu 0xfffd
	v_add_co_ci_u32_e32 v7, vcc_lo, 0, v3, vcc_lo
	s_delay_alu instid0(VALU_DEP_2) | instskip(SKIP_1) | instid1(VALU_DEP_3)
	v_mul_lo_u32 v10, s29, v6
	v_mad_co_u64_u32 v[2:3], null, s28, v6, 0
	v_mul_lo_u32 v11, s28, v7
	s_delay_alu instid0(VALU_DEP_2) | instskip(NEXT) | instid1(VALU_DEP_2)
	v_sub_co_u32 v2, vcc_lo, v8, v2
	v_add3_u32 v3, v3, v11, v10
	s_delay_alu instid0(VALU_DEP_1) | instskip(SKIP_1) | instid1(VALU_DEP_1)
	v_sub_nc_u32_e32 v10, v9, v3
	s_wait_alu 0xfffd
	v_subrev_co_ci_u32_e64 v10, s2, s29, v10, vcc_lo
	v_add_co_u32 v11, s2, v6, 2
	s_wait_alu 0xf1ff
	v_add_co_ci_u32_e64 v12, s2, 0, v7, s2
	v_sub_co_u32 v13, s2, v2, s28
	v_sub_co_ci_u32_e32 v3, vcc_lo, v9, v3, vcc_lo
	s_wait_alu 0xf1ff
	v_subrev_co_ci_u32_e64 v10, s2, 0, v10, s2
	s_delay_alu instid0(VALU_DEP_3) | instskip(NEXT) | instid1(VALU_DEP_3)
	v_cmp_le_u32_e32 vcc_lo, s28, v13
	v_cmp_eq_u32_e64 s2, s29, v3
	s_wait_alu 0xfffd
	v_cndmask_b32_e64 v13, 0, -1, vcc_lo
	v_cmp_le_u32_e32 vcc_lo, s29, v10
	s_wait_alu 0xfffd
	v_cndmask_b32_e64 v14, 0, -1, vcc_lo
	v_cmp_le_u32_e32 vcc_lo, s28, v2
	;; [unrolled: 3-line block ×3, first 2 shown]
	s_wait_alu 0xfffd
	v_cndmask_b32_e64 v15, 0, -1, vcc_lo
	v_cmp_eq_u32_e32 vcc_lo, s29, v10
	s_wait_alu 0xf1ff
	s_delay_alu instid0(VALU_DEP_2)
	v_cndmask_b32_e64 v2, v15, v2, s2
	s_wait_alu 0xfffd
	v_cndmask_b32_e32 v10, v14, v13, vcc_lo
	v_add_co_u32 v13, vcc_lo, v6, 1
	s_wait_alu 0xfffd
	v_add_co_ci_u32_e32 v14, vcc_lo, 0, v7, vcc_lo
	s_delay_alu instid0(VALU_DEP_3) | instskip(SKIP_1) | instid1(VALU_DEP_2)
	v_cmp_ne_u32_e32 vcc_lo, 0, v10
	s_wait_alu 0xfffd
	v_dual_cndmask_b32 v3, v14, v12 :: v_dual_cndmask_b32 v10, v13, v11
	v_cmp_ne_u32_e32 vcc_lo, 0, v2
	s_wait_alu 0xfffd
	s_delay_alu instid0(VALU_DEP_2)
	v_dual_cndmask_b32 v7, v7, v3 :: v_dual_cndmask_b32 v6, v6, v10
.LBB0_4:                                ;   in Loop: Header=BB0_2 Depth=1
	s_wait_alu 0xfffe
	s_and_not1_saveexec_b32 s2, s30
	s_cbranch_execz .LBB0_6
; %bb.5:                                ;   in Loop: Header=BB0_2 Depth=1
	v_cvt_f32_u32_e32 v2, s28
	s_sub_co_i32 s30, 0, s28
	s_delay_alu instid0(VALU_DEP_1) | instskip(NEXT) | instid1(TRANS32_DEP_1)
	v_rcp_iflag_f32_e32 v2, v2
	v_mul_f32_e32 v2, 0x4f7ffffe, v2
	s_delay_alu instid0(VALU_DEP_1) | instskip(SKIP_1) | instid1(VALU_DEP_1)
	v_cvt_u32_f32_e32 v2, v2
	s_wait_alu 0xfffe
	v_mul_lo_u32 v3, s30, v2
	s_delay_alu instid0(VALU_DEP_1) | instskip(NEXT) | instid1(VALU_DEP_1)
	v_mul_hi_u32 v3, v2, v3
	v_add_nc_u32_e32 v2, v2, v3
	s_delay_alu instid0(VALU_DEP_1) | instskip(NEXT) | instid1(VALU_DEP_1)
	v_mul_hi_u32 v2, v8, v2
	v_mul_lo_u32 v3, v2, s28
	v_add_nc_u32_e32 v6, 1, v2
	s_delay_alu instid0(VALU_DEP_2) | instskip(NEXT) | instid1(VALU_DEP_1)
	v_sub_nc_u32_e32 v3, v8, v3
	v_subrev_nc_u32_e32 v7, s28, v3
	v_cmp_le_u32_e32 vcc_lo, s28, v3
	s_wait_alu 0xfffd
	s_delay_alu instid0(VALU_DEP_2) | instskip(SKIP_1) | instid1(VALU_DEP_2)
	v_cndmask_b32_e32 v3, v3, v7, vcc_lo
	v_dual_mov_b32 v7, v1 :: v_dual_cndmask_b32 v2, v2, v6
	v_cmp_le_u32_e32 vcc_lo, s28, v3
	s_delay_alu instid0(VALU_DEP_2) | instskip(SKIP_1) | instid1(VALU_DEP_1)
	v_add_nc_u32_e32 v6, 1, v2
	s_wait_alu 0xfffd
	v_cndmask_b32_e32 v6, v2, v6, vcc_lo
.LBB0_6:                                ;   in Loop: Header=BB0_2 Depth=1
	s_wait_alu 0xfffe
	s_or_b32 exec_lo, exec_lo, s2
	v_mul_lo_u32 v10, v7, s28
	s_delay_alu instid0(VALU_DEP_2)
	v_mul_lo_u32 v11, v6, s29
	s_load_b64 s[30:31], s[22:23], 0x0
	v_mad_co_u64_u32 v[2:3], null, v6, s28, 0
	s_load_b64 s[28:29], s[20:21], 0x0
	s_add_nc_u64 s[24:25], s[24:25], 1
	s_add_nc_u64 s[20:21], s[20:21], 8
	s_wait_alu 0xfffe
	v_cmp_ge_u64_e64 s2, s[24:25], s[10:11]
	s_add_nc_u64 s[22:23], s[22:23], 8
	s_add_nc_u64 s[26:27], s[26:27], 8
	v_add3_u32 v3, v3, v11, v10
	v_sub_co_u32 v2, vcc_lo, v8, v2
	s_wait_alu 0xfffd
	s_delay_alu instid0(VALU_DEP_2) | instskip(SKIP_2) | instid1(VALU_DEP_1)
	v_sub_co_ci_u32_e32 v3, vcc_lo, v9, v3, vcc_lo
	s_and_b32 vcc_lo, exec_lo, s2
	s_wait_kmcnt 0x0
	v_mul_lo_u32 v8, s30, v3
	v_mul_lo_u32 v9, s31, v2
	v_mad_co_u64_u32 v[18:19], null, s30, v2, v[18:19]
	v_mul_lo_u32 v3, s28, v3
	v_mul_lo_u32 v10, s29, v2
	v_mad_co_u64_u32 v[4:5], null, s28, v2, v[4:5]
	s_delay_alu instid0(VALU_DEP_4) | instskip(NEXT) | instid1(VALU_DEP_2)
	v_add3_u32 v19, v9, v19, v8
	v_add3_u32 v5, v10, v5, v3
	s_wait_alu 0xfffe
	s_cbranch_vccnz .LBB0_9
; %bb.7:                                ;   in Loop: Header=BB0_2 Depth=1
	v_dual_mov_b32 v9, v7 :: v_dual_mov_b32 v8, v6
	s_branch .LBB0_2
.LBB0_8:
	v_dual_mov_b32 v4, v18 :: v_dual_mov_b32 v5, v19
	s_delay_alu instid0(VALU_DEP_2)
	v_dual_mov_b32 v6, v8 :: v_dual_mov_b32 v7, v9
.LBB0_9:
	s_load_b64 s[0:1], s[0:1], 0x28
	v_mul_hi_u32 v2, 0x20c49bb, v0
	s_lshl_b64 s[10:11], s[10:11], 3
                                        ; implicit-def: $vgpr35
                                        ; implicit-def: $vgpr37
                                        ; implicit-def: $vgpr39
                                        ; implicit-def: $vgpr36
                                        ; implicit-def: $vgpr38
	s_wait_kmcnt 0x0
	v_cmp_gt_u64_e32 vcc_lo, s[0:1], v[6:7]
	v_cmp_le_u64_e64 s0, s[0:1], v[6:7]
	s_delay_alu instid0(VALU_DEP_1)
	s_and_saveexec_b32 s1, s0
	s_wait_alu 0xfffe
	s_xor_b32 s0, exec_lo, s1
; %bb.10:
	v_mul_u32_u24_e32 v1, 0x7d, v2
                                        ; implicit-def: $vgpr2
                                        ; implicit-def: $vgpr18_vgpr19
	s_delay_alu instid0(VALU_DEP_1) | instskip(NEXT) | instid1(VALU_DEP_1)
	v_sub_nc_u32_e32 v35, v0, v1
                                        ; implicit-def: $vgpr0
	v_add_nc_u32_e32 v37, 0x7d, v35
	v_add_nc_u32_e32 v39, 0xfa, v35
	;; [unrolled: 1-line block ×4, first 2 shown]
; %bb.11:
	s_wait_alu 0xfffe
	s_or_saveexec_b32 s1, s0
	s_add_nc_u64 s[2:3], s[14:15], s[10:11]
                                        ; implicit-def: $vgpr17
                                        ; implicit-def: $vgpr11
                                        ; implicit-def: $vgpr15
                                        ; implicit-def: $vgpr13
                                        ; implicit-def: $vgpr9
                                        ; implicit-def: $vgpr32
                                        ; implicit-def: $vgpr30
                                        ; implicit-def: $vgpr22
                                        ; implicit-def: $vgpr20
                                        ; implicit-def: $vgpr3
                                        ; implicit-def: $vgpr34
                                        ; implicit-def: $vgpr24
                                        ; implicit-def: $vgpr28
                                        ; implicit-def: $vgpr26
                                        ; implicit-def: $vgpr1
	s_wait_alu 0xfffe
	s_xor_b32 exec_lo, exec_lo, s1
	s_cbranch_execz .LBB0_13
; %bb.12:
	v_mul_u32_u24_e32 v1, 0x7d, v2
	s_add_nc_u64 s[10:11], s[12:13], s[10:11]
	s_load_b64 s[10:11], s[10:11], 0x0
	s_delay_alu instid0(VALU_DEP_1) | instskip(SKIP_1) | instid1(VALU_DEP_2)
	v_sub_nc_u32_e32 v35, v0, v1
	v_lshlrev_b64_e32 v[0:1], 3, v[18:19]
	v_mad_co_u64_u32 v[2:3], null, s18, v35, 0
	v_add_nc_u32_e32 v23, 0x5dc, v35
	v_add_nc_u32_e32 v36, 0x177, v35
	;; [unrolled: 1-line block ×6, first 2 shown]
	v_mad_co_u64_u32 v[16:17], null, s19, v35, v[3:4]
	v_mad_co_u64_u32 v[17:18], null, s18, v23, 0
	v_add_nc_u32_e32 v21, 0x2ee, v35
	v_mad_co_u64_u32 v[8:9], null, s18, v36, 0
	s_wait_kmcnt 0x0
	v_mul_lo_u32 v19, s11, v6
	v_mul_lo_u32 v20, s10, v7
	v_mad_co_u64_u32 v[10:11], null, s18, v21, 0
	v_mad_co_u64_u32 v[12:13], null, s10, v6, 0
	v_dual_mov_b32 v3, v9 :: v_dual_add_nc_u32 v22, 0x465, v35
	s_delay_alu instid0(VALU_DEP_3) | instskip(NEXT) | instid1(VALU_DEP_2)
	v_mov_b32_e32 v9, v11
	v_mad_co_u64_u32 v[14:15], null, s18, v22, 0
	s_delay_alu instid0(VALU_DEP_4) | instskip(NEXT) | instid1(VALU_DEP_4)
	v_add3_u32 v13, v13, v20, v19
	v_mad_co_u64_u32 v[19:20], null, s19, v36, v[3:4]
	v_mov_b32_e32 v3, v16
	s_delay_alu instid0(VALU_DEP_3) | instskip(SKIP_4) | instid1(VALU_DEP_4)
	v_lshlrev_b64_e32 v[12:13], 3, v[12:13]
	v_mov_b32_e32 v11, v15
	v_mad_co_u64_u32 v[15:16], null, s19, v21, v[9:10]
	v_mov_b32_e32 v9, v19
	v_lshlrev_b64_e32 v[2:3], 3, v[2:3]
	v_mad_co_u64_u32 v[20:21], null, s19, v22, v[11:12]
	v_add_co_u32 v11, s0, s4, v12
	s_wait_alu 0xf1ff
	v_add_co_ci_u32_e64 v12, s0, s5, v13, s0
	s_delay_alu instid0(VALU_DEP_2)
	v_add_co_u32 v49, s0, v11, v0
	v_mov_b32_e32 v11, v15
	v_mov_b32_e32 v15, v20
	s_wait_alu 0xf1ff
	v_add_co_ci_u32_e64 v50, s0, v12, v1, s0
	v_lshlrev_b64_e32 v[0:1], 3, v[8:9]
	v_add_co_u32 v2, s0, v49, v2
	v_lshlrev_b64_e32 v[12:13], 3, v[14:15]
	v_mad_co_u64_u32 v[14:15], null, s18, v37, 0
	s_wait_alu 0xf1ff
	v_add_co_ci_u32_e64 v3, s0, v50, v3, s0
	v_add_co_u32 v8, s0, v49, v0
	v_mov_b32_e32 v0, v18
	v_lshlrev_b64_e32 v[10:11], 3, v[10:11]
	s_wait_alu 0xf1ff
	v_add_co_ci_u32_e64 v9, s0, v50, v1, s0
	v_mad_co_u64_u32 v[19:20], null, s18, v38, 0
	v_mad_co_u64_u32 v[0:1], null, s19, v23, v[0:1]
	v_mov_b32_e32 v1, v15
	v_add_co_u32 v10, s0, v49, v10
	s_wait_alu 0xf1ff
	v_add_co_ci_u32_e64 v11, s0, v50, v11, s0
	s_delay_alu instid0(VALU_DEP_3)
	v_mad_co_u64_u32 v[15:16], null, s19, v37, v[1:2]
	v_add_nc_u32_e32 v16, 0x36b, v35
	v_add_co_u32 v12, s0, v49, v12
	s_wait_alu 0xf1ff
	v_add_co_ci_u32_e64 v13, s0, v50, v13, s0
	v_mov_b32_e32 v18, v0
	s_clause 0x3
	global_load_b64 v[0:1], v[2:3], off
	global_load_b64 v[25:26], v[8:9], off
	;; [unrolled: 1-line block ×4, first 2 shown]
	v_mad_co_u64_u32 v[9:10], null, s18, v16, 0
	v_mov_b32_e32 v8, v20
	v_lshlrev_b64_e32 v[2:3], 3, v[17:18]
	v_add_nc_u32_e32 v18, 0x4e2, v35
	s_delay_alu instid0(VALU_DEP_3)
	v_mad_co_u64_u32 v[11:12], null, s19, v38, v[8:9]
	v_mov_b32_e32 v8, v10
	v_lshlrev_b64_e32 v[12:13], 3, v[14:15]
	v_add_co_u32 v2, s0, v49, v2
	s_wait_alu 0xf1ff
	v_add_co_ci_u32_e64 v3, s0, v50, v3, s0
	v_mov_b32_e32 v20, v11
	v_mad_co_u64_u32 v[10:11], null, s19, v16, v[8:9]
	v_mad_co_u64_u32 v[14:15], null, s18, v18, 0
	v_add_co_u32 v11, s0, v49, v12
	s_wait_alu 0xf1ff
	v_add_co_ci_u32_e64 v12, s0, v50, v13, s0
	v_add_nc_u32_e32 v13, 0x659, v35
	v_lshlrev_b64_e32 v[16:17], 3, v[19:20]
	v_lshlrev_b64_e32 v[9:10], 3, v[9:10]
	v_mov_b32_e32 v8, v15
	s_delay_alu instid0(VALU_DEP_4) | instskip(NEXT) | instid1(VALU_DEP_4)
	v_mad_co_u64_u32 v[29:30], null, s18, v13, 0
	v_add_co_u32 v16, s0, v49, v16
	s_delay_alu instid0(VALU_DEP_3) | instskip(SKIP_2) | instid1(VALU_DEP_4)
	v_mad_co_u64_u32 v[18:19], null, s19, v18, v[8:9]
	s_wait_alu 0xf1ff
	v_add_co_ci_u32_e64 v17, s0, v50, v17, s0
	v_mov_b32_e32 v8, v30
	v_add_co_u32 v9, s0, v49, v9
	s_wait_alu 0xf1ff
	v_add_co_ci_u32_e64 v10, s0, v50, v10, s0
	v_mov_b32_e32 v15, v18
	s_delay_alu instid0(VALU_DEP_3)
	v_mad_co_u64_u32 v[18:19], null, s19, v13, v[8:9]
	v_add_nc_u32_e32 v39, 0xfa, v35
	s_clause 0x3
	global_load_b64 v[33:34], v[2:3], off
	global_load_b64 v[2:3], v[11:12], off
	;; [unrolled: 1-line block ×4, first 2 shown]
	v_mad_co_u64_u32 v[11:12], null, s18, v41, 0
	v_mov_b32_e32 v30, v18
	v_mad_co_u64_u32 v[31:32], null, s18, v39, 0
	v_add_nc_u32_e32 v18, 0x3e8, v35
	s_delay_alu instid0(VALU_DEP_3) | instskip(SKIP_1) | instid1(VALU_DEP_4)
	v_lshlrev_b64_e32 v[16:17], 3, v[29:30]
	v_mad_co_u64_u32 v[29:30], null, s18, v44, 0
	v_mov_b32_e32 v10, v32
	v_lshlrev_b64_e32 v[8:9], 3, v[14:15]
	s_delay_alu instid0(VALU_DEP_2) | instskip(SKIP_2) | instid1(VALU_DEP_4)
	v_mad_co_u64_u32 v[13:14], null, s19, v39, v[10:11]
	v_mad_co_u64_u32 v[14:15], null, s18, v18, 0
	v_mov_b32_e32 v10, v12
	v_add_co_u32 v8, s0, v49, v8
	s_wait_alu 0xf1ff
	v_add_co_ci_u32_e64 v9, s0, v50, v9, s0
	v_mov_b32_e32 v32, v13
	v_mad_co_u64_u32 v[12:13], null, s19, v41, v[10:11]
	v_dual_mov_b32 v10, v15 :: v_dual_add_nc_u32 v13, 0x6d6, v35
	v_add_co_u32 v16, s0, v49, v16
	s_wait_alu 0xf1ff
	v_add_co_ci_u32_e64 v17, s0, v50, v17, s0
	s_delay_alu instid0(VALU_DEP_3) | instskip(SKIP_3) | instid1(VALU_DEP_4)
	v_mad_co_u64_u32 v[41:42], null, s19, v18, v[10:11]
	v_mad_co_u64_u32 v[42:43], null, s18, v13, 0
	v_mov_b32_e32 v10, v30
	v_lshlrev_b64_e32 v[30:31], 3, v[31:32]
	v_mov_b32_e32 v15, v41
	s_delay_alu instid0(VALU_DEP_3)
	v_mad_co_u64_u32 v[44:45], null, s19, v44, v[10:11]
	v_lshlrev_b64_e32 v[11:12], 3, v[11:12]
	v_mov_b32_e32 v10, v43
	v_add_co_u32 v45, s0, v49, v30
	s_wait_alu 0xf1ff
	v_add_co_ci_u32_e64 v46, s0, v50, v31, s0
	s_delay_alu instid0(VALU_DEP_3)
	v_mad_co_u64_u32 v[31:32], null, s19, v13, v[10:11]
	v_mov_b32_e32 v30, v44
	v_lshlrev_b64_e32 v[13:14], 3, v[14:15]
	v_add_co_u32 v10, s0, v49, v11
	s_wait_alu 0xf1ff
	v_add_co_ci_u32_e64 v11, s0, v50, v12, s0
	v_mov_b32_e32 v43, v31
	v_lshlrev_b64_e32 v[29:30], 3, v[29:30]
	v_add_co_u32 v47, s0, v49, v13
	s_wait_alu 0xf1ff
	v_add_co_ci_u32_e64 v48, s0, v50, v14, s0
	v_lshlrev_b64_e32 v[12:13], 3, v[42:43]
	s_delay_alu instid0(VALU_DEP_4) | instskip(SKIP_2) | instid1(VALU_DEP_3)
	v_add_co_u32 v41, s0, v49, v29
	s_wait_alu 0xf1ff
	v_add_co_ci_u32_e64 v42, s0, v50, v30, s0
	v_add_co_u32 v43, s0, v49, v12
	s_wait_alu 0xf1ff
	v_add_co_ci_u32_e64 v44, s0, v50, v13, s0
	s_clause 0x6
	global_load_b64 v[29:30], v[8:9], off
	global_load_b64 v[31:32], v[16:17], off
	;; [unrolled: 1-line block ×7, first 2 shown]
.LBB0_13:
	s_or_b32 exec_lo, exec_lo, s1
	s_wait_loadcnt 0xb
	v_dual_add_f32 v18, v23, v27 :: v_dual_add_f32 v41, v25, v0
	s_wait_loadcnt 0xa
	v_dual_sub_f32 v42, v26, v34 :: v_dual_sub_f32 v43, v28, v24
	v_dual_sub_f32 v45, v33, v23 :: v_dual_and_b32 v40, 1, v40
	s_delay_alu instid0(VALU_DEP_3) | instskip(SKIP_2) | instid1(VALU_DEP_4)
	v_fma_f32 v44, -0.5, v18, v0
	v_dual_sub_f32 v18, v25, v27 :: v_dual_add_f32 v41, v27, v41
	v_add_f32_e32 v46, v33, v25
	v_cmp_eq_u32_e64 s0, 1, v40
	s_delay_alu instid0(VALU_DEP_4) | instskip(NEXT) | instid1(VALU_DEP_4)
	v_fmamk_f32 v47, v42, 0xbf737871, v44
	v_add_f32_e32 v45, v45, v18
	s_delay_alu instid0(VALU_DEP_4) | instskip(SKIP_1) | instid1(VALU_DEP_2)
	v_dual_add_f32 v41, v23, v41 :: v_dual_fmac_f32 v0, -0.5, v46
	v_dual_fmac_f32 v44, 0x3f737871, v42 :: v_dual_add_f32 v49, v26, v1
	v_dual_fmac_f32 v47, 0xbf167918, v43 :: v_dual_add_f32 v40, v33, v41
	v_sub_f32_e32 v46, v27, v25
	v_sub_f32_e32 v48, v23, v33
	s_delay_alu instid0(VALU_DEP_3) | instskip(SKIP_2) | instid1(VALU_DEP_4)
	v_dual_add_f32 v50, v24, v28 :: v_dual_fmac_f32 v47, 0x3e9e377a, v45
	v_fmamk_f32 v41, v43, 0x3f737871, v0
	v_fmac_f32_e32 v44, 0x3f167918, v43
	v_add_f32_e32 v46, v48, v46
	v_dual_fmac_f32 v0, 0xbf737871, v43 :: v_dual_sub_f32 v25, v25, v33
	v_add_f32_e32 v43, v28, v49
	v_fma_f32 v48, -0.5, v50, v1
	v_fmac_f32_e32 v41, 0xbf167918, v42
	s_delay_alu instid0(VALU_DEP_4) | instskip(NEXT) | instid1(VALU_DEP_4)
	v_fmac_f32_e32 v0, 0x3f167918, v42
	v_dual_fmac_f32 v44, 0x3e9e377a, v45 :: v_dual_add_f32 v33, v24, v43
	s_delay_alu instid0(VALU_DEP_4) | instskip(NEXT) | instid1(VALU_DEP_3)
	v_dual_fmamk_f32 v42, v25, 0x3f737871, v48 :: v_dual_add_f32 v43, v34, v26
	v_dual_sub_f32 v23, v27, v23 :: v_dual_fmac_f32 v0, 0x3e9e377a, v46
	v_sub_f32_e32 v27, v26, v28
	v_dual_sub_f32 v45, v34, v24 :: v_dual_fmac_f32 v48, 0xbf737871, v25
	s_delay_alu instid0(VALU_DEP_4) | instskip(SKIP_2) | instid1(VALU_DEP_2)
	v_dual_fmac_f32 v1, -0.5, v43 :: v_dual_sub_f32 v26, v28, v26
	v_dual_add_f32 v33, v34, v33 :: v_dual_sub_f32 v24, v24, v34
	s_wait_loadcnt 0x6
	v_dual_add_f32 v28, v29, v21 :: v_dual_fmamk_f32 v43, v23, 0xbf737871, v1
	v_fmac_f32_e32 v42, 0x3f167918, v23
	s_delay_alu instid0(VALU_DEP_3)
	v_dual_add_f32 v27, v45, v27 :: v_dual_add_f32 v24, v24, v26
	v_add_f32_e32 v26, v19, v2
	v_fmac_f32_e32 v48, 0xbf167918, v23
	v_fmac_f32_e32 v43, 0x3f167918, v25
	v_fma_f32 v28, -0.5, v28, v2
	s_wait_loadcnt 0x5
	v_dual_sub_f32 v34, v20, v32 :: v_dual_fmac_f32 v1, 0x3f737871, v23
	s_delay_alu instid0(VALU_DEP_3) | instskip(SKIP_2) | instid1(VALU_DEP_4)
	v_dual_fmac_f32 v42, 0x3e9e377a, v27 :: v_dual_fmac_f32 v43, 0x3e9e377a, v24
	v_dual_add_f32 v23, v21, v26 :: v_dual_fmac_f32 v48, 0x3e9e377a, v27
	v_sub_f32_e32 v27, v22, v30
	v_dual_fmamk_f32 v26, v34, 0xbf737871, v28 :: v_dual_sub_f32 v45, v19, v21
	v_dual_add_f32 v49, v31, v19 :: v_dual_fmac_f32 v28, 0x3f737871, v34
	v_dual_fmac_f32 v41, 0x3e9e377a, v46 :: v_dual_sub_f32 v46, v31, v29
	v_add_f32_e32 v23, v29, v23
	s_delay_alu instid0(VALU_DEP_4) | instskip(NEXT) | instid1(VALU_DEP_4)
	v_dual_fmac_f32 v1, 0xbf167918, v25 :: v_dual_fmac_f32 v26, 0xbf167918, v27
	v_fmac_f32_e32 v2, -0.5, v49
	v_add_f32_e32 v50, v30, v22
	s_wait_alu 0xf1ff
	v_cndmask_b32_e64 v18, 0, 0x1d4c, s0
	v_fmac_f32_e32 v1, 0x3e9e377a, v24
	v_dual_add_f32 v25, v46, v45 :: v_dual_fmamk_f32 v24, v27, 0x3f737871, v2
	v_sub_f32_e32 v45, v21, v19
	v_add_f32_e32 v49, v20, v3
	v_fmac_f32_e32 v2, 0xbf737871, v27
	s_delay_alu instid0(VALU_DEP_4)
	v_dual_add_f32 v23, v31, v23 :: v_dual_fmac_f32 v26, 0x3e9e377a, v25
	v_fmac_f32_e32 v24, 0xbf167918, v34
	v_sub_f32_e32 v46, v29, v31
	v_dual_fmac_f32 v28, 0x3f167918, v27 :: v_dual_add_f32 v27, v22, v49
	v_sub_f32_e32 v21, v21, v29
	s_load_b64 s[2:3], s[2:3], 0x0
	s_delay_alu instid0(VALU_DEP_3) | instskip(SKIP_2) | instid1(VALU_DEP_3)
	v_add_f32_e32 v45, v46, v45
	v_fma_f32 v46, -0.5, v50, v3
	v_dual_sub_f32 v19, v19, v31 :: v_dual_fmac_f32 v28, 0x3e9e377a, v25
	v_dual_add_f32 v25, v30, v27 :: v_dual_fmac_f32 v24, 0x3e9e377a, v45
	v_dual_add_f32 v27, v32, v20 :: v_dual_fmac_f32 v2, 0x3f167918, v34
	s_delay_alu instid0(VALU_DEP_3) | instskip(SKIP_1) | instid1(VALU_DEP_3)
	v_dual_fmamk_f32 v31, v19, 0x3f737871, v46 :: v_dual_sub_f32 v34, v32, v30
	v_sub_f32_e32 v29, v20, v22
	v_dual_fmac_f32 v3, -0.5, v27 :: v_dual_sub_f32 v20, v22, v20
	s_delay_alu instid0(VALU_DEP_4) | instskip(SKIP_2) | instid1(VALU_DEP_4)
	v_fmac_f32_e32 v2, 0x3e9e377a, v45
	v_dual_add_f32 v45, v32, v25 :: v_dual_fmac_f32 v46, 0xbf737871, v19
	v_dual_fmac_f32 v31, 0x3f167918, v21 :: v_dual_sub_f32 v22, v30, v32
	v_dual_add_f32 v25, v34, v29 :: v_dual_fmamk_f32 v34, v21, 0xbf737871, v3
	s_wait_loadcnt 0x1
	s_delay_alu instid0(VALU_DEP_3) | instskip(NEXT) | instid1(VALU_DEP_2)
	v_dual_add_f32 v27, v10, v14 :: v_dual_fmac_f32 v46, 0xbf167918, v21
	v_dual_add_f32 v20, v22, v20 :: v_dual_fmac_f32 v31, 0x3e9e377a, v25
	s_wait_loadcnt 0x0
	v_dual_fmac_f32 v34, 0x3f167918, v19 :: v_dual_sub_f32 v29, v13, v17
	v_dual_add_f32 v22, v12, v8 :: v_dual_fmac_f32 v3, 0x3f737871, v21
	v_fma_f32 v27, -0.5, v27, v8
	v_dual_fmac_f32 v46, 0x3e9e377a, v25 :: v_dual_add_f32 v49, v16, v12
	s_delay_alu instid0(VALU_DEP_3) | instskip(NEXT) | instid1(VALU_DEP_3)
	v_dual_add_f32 v21, v14, v22 :: v_dual_fmac_f32 v34, 0x3e9e377a, v20
	v_dual_sub_f32 v25, v15, v11 :: v_dual_fmamk_f32 v22, v29, 0xbf737871, v27
	v_dual_sub_f32 v30, v12, v14 :: v_dual_fmac_f32 v3, 0xbf167918, v19
	s_delay_alu instid0(VALU_DEP_3) | instskip(SKIP_2) | instid1(VALU_DEP_3)
	v_dual_sub_f32 v32, v16, v10 :: v_dual_add_f32 v19, v10, v21
	v_fmac_f32_e32 v8, -0.5, v49
	v_fmac_f32_e32 v27, 0x3f737871, v29
	v_dual_fmac_f32 v22, 0xbf167918, v25 :: v_dual_add_f32 v21, v32, v30
	v_fmac_f32_e32 v3, 0x3e9e377a, v20
	s_delay_alu instid0(VALU_DEP_4) | instskip(NEXT) | instid1(VALU_DEP_4)
	v_fmamk_f32 v20, v25, 0x3f737871, v8
	v_dual_sub_f32 v30, v14, v12 :: v_dual_fmac_f32 v27, 0x3f167918, v25
	v_dual_sub_f32 v32, v10, v16 :: v_dual_add_f32 v49, v13, v9
	v_dual_add_f32 v19, v16, v19 :: v_dual_fmac_f32 v22, 0x3e9e377a, v21
	s_delay_alu instid0(VALU_DEP_3) | instskip(SKIP_1) | instid1(VALU_DEP_4)
	v_dual_add_f32 v50, v11, v15 :: v_dual_fmac_f32 v27, 0x3e9e377a, v21
	v_fmac_f32_e32 v20, 0xbf167918, v29
	v_add_f32_e32 v30, v32, v30
	v_fmac_f32_e32 v8, 0xbf737871, v25
	v_dual_add_f32 v25, v15, v49 :: v_dual_sub_f32 v12, v12, v16
	v_add_f32_e32 v21, v17, v13
	v_fma_f32 v32, -0.5, v50, v9
	v_sub_f32_e32 v10, v14, v10
	s_delay_alu instid0(VALU_DEP_4) | instskip(NEXT) | instid1(VALU_DEP_4)
	v_dual_add_f32 v16, v11, v25 :: v_dual_sub_f32 v25, v17, v11
	v_dual_fmac_f32 v20, 0x3e9e377a, v30 :: v_dual_fmac_f32 v9, -0.5, v21
	s_delay_alu instid0(VALU_DEP_4) | instskip(SKIP_1) | instid1(VALU_DEP_3)
	v_dual_fmamk_f32 v49, v12, 0x3f737871, v32 :: v_dual_sub_f32 v14, v13, v15
	v_dual_sub_f32 v11, v11, v17 :: v_dual_fmac_f32 v32, 0xbf737871, v12
	v_dual_sub_f32 v13, v15, v13 :: v_dual_fmamk_f32 v50, v10, 0xbf737871, v9
	v_fmac_f32_e32 v9, 0x3f737871, v10
	s_delay_alu instid0(VALU_DEP_4) | instskip(NEXT) | instid1(VALU_DEP_3)
	v_add_f32_e32 v14, v25, v14
	v_dual_fmac_f32 v32, 0xbf167918, v10 :: v_dual_add_f32 v11, v11, v13
	s_delay_alu instid0(VALU_DEP_4) | instskip(NEXT) | instid1(VALU_DEP_4)
	v_fmac_f32_e32 v50, 0x3f167918, v12
	v_fmac_f32_e32 v9, 0xbf167918, v12
	;; [unrolled: 1-line block ×3, first 2 shown]
	v_add_nc_u32_e32 v10, 0, v18
	v_fmac_f32_e32 v32, 0x3e9e377a, v14
	v_fmac_f32_e32 v50, 0x3e9e377a, v11
	;; [unrolled: 1-line block ×3, first 2 shown]
	v_dual_fmac_f32 v8, 0x3f167918, v29 :: v_dual_lshlrev_b32 v11, 4, v39
	v_mad_u32_u24 v13, v35, 20, v10
	v_fmac_f32_e32 v49, 0x3e9e377a, v14
	v_mad_i32_i24 v14, v37, 20, v10
	ds_store_2addr_b32 v13, v40, v47 offset1:1
	ds_store_2addr_b32 v13, v41, v0 offset0:2 offset1:3
	ds_store_b32 v13, v44 offset:16
	v_fmac_f32_e32 v8, 0x3e9e377a, v30
	v_add_f32_e32 v30, v17, v16
	v_mad_i32_i24 v15, v39, 20, v10
	v_lshlrev_b32_e32 v0, 4, v35
	ds_store_2addr_b32 v14, v23, v26 offset1:1
	ds_store_2addr_b32 v14, v24, v2 offset0:2 offset1:3
	ds_store_b32 v14, v28 offset:16
	ds_store_2addr_b32 v15, v19, v22 offset1:1
	ds_store_2addr_b32 v15, v20, v8 offset0:2 offset1:3
	ds_store_b32 v15, v27 offset:16
	v_sub_nc_u32_e32 v0, v13, v0
	v_sub_nc_u32_e32 v27, v15, v11
	v_and_b32_e32 v11, 0xff, v35
	v_lshlrev_b32_e32 v8, 2, v35
	v_lshlrev_b32_e32 v2, 4, v37
	v_add_nc_u32_e32 v20, 0x800, v0
	v_add_nc_u32_e32 v29, 0x1000, v0
	v_mul_lo_u16 v40, 0xcd, v11
	v_add_nc_u32_e32 v23, 0x1400, v0
	global_wb scope:SCOPE_SE
	s_wait_dscnt 0x0
	s_wait_kmcnt 0x0
	s_barrier_signal -1
	s_barrier_wait -1
	global_inv scope:SCOPE_SE
	v_add_nc_u32_e32 v21, v10, v8
	ds_load_2addr_b32 v[60:61], v20 offset0:113 offset1:238
	ds_load_2addr_b32 v[62:63], v29 offset0:101 offset1:226
	v_add_nc_u32_e32 v26, 0xc00, v0
	v_lshrrev_b16 v81, 10, v40
	v_lshl_add_u32 v22, v36, 2, v10
	ds_load_2addr_b32 v[64:65], v23 offset0:95 offset1:220
	v_add_nc_u32_e32 v28, 0x1800, v0
	v_sub_nc_u32_e32 v24, v14, v2
	v_lshl_add_u32 v25, v38, 2, v10
	ds_load_2addr_b32 v[66:67], v26 offset0:107 offset1:232
	ds_load_2addr_b32 v[68:69], v28 offset0:89 offset1:214
	ds_load_b32 v17, v21
	ds_load_b32 v19, v22
	;; [unrolled: 1-line block ×5, first 2 shown]
	global_wb scope:SCOPE_SE
	s_wait_dscnt 0x0
	s_barrier_signal -1
	s_barrier_wait -1
	global_inv scope:SCOPE_SE
	ds_store_2addr_b32 v13, v33, v42 offset1:1
	ds_store_2addr_b32 v13, v43, v1 offset0:2 offset1:3
	ds_store_b32 v13, v48 offset:16
	v_mul_lo_u16 v13, v81, 5
	v_and_b32_e32 v2, 0xff, v37
	ds_store_2addr_b32 v14, v45, v31 offset1:1
	ds_store_2addr_b32 v14, v34, v3 offset0:2 offset1:3
	ds_store_b32 v14, v46 offset:16
	ds_store_2addr_b32 v15, v30, v49 offset1:1
	ds_store_2addr_b32 v15, v50, v9 offset0:2 offset1:3
	ds_store_b32 v15, v32 offset:16
	global_wb scope:SCOPE_SE
	s_wait_dscnt 0x0
	v_sub_nc_u16 v13, v35, v13
	v_mul_lo_u16 v1, 0xcd, v2
	s_barrier_signal -1
	s_barrier_wait -1
	global_inv scope:SCOPE_SE
	v_and_b32_e32 v34, 0xff, v13
	v_lshrrev_b16 v3, 10, v1
	s_delay_alu instid0(VALU_DEP_2)
	v_lshlrev_b32_e32 v14, 5, v34
	s_clause 0x1
	global_load_b128 v[30:33], v14, s[8:9]
	global_load_b128 v[40:43], v14, s[8:9] offset:16
	v_and_b32_e32 v1, 0xffff, v39
	v_mul_lo_u16 v9, v3, 5
	v_and_b32_e32 v3, 0xffff, v3
	s_delay_alu instid0(VALU_DEP_3) | instskip(NEXT) | instid1(VALU_DEP_3)
	v_mul_u32_u24_e32 v13, 0xcccd, v1
	v_sub_nc_u16 v9, v37, v9
	s_delay_alu instid0(VALU_DEP_3) | instskip(NEXT) | instid1(VALU_DEP_3)
	v_mad_u32_u24 v3, 0x64, v3, 0
	v_lshrrev_b32_e32 v82, 18, v13
	s_delay_alu instid0(VALU_DEP_3) | instskip(NEXT) | instid1(VALU_DEP_2)
	v_and_b32_e32 v9, 0xff, v9
	v_mul_lo_u16 v14, v82, 5
	s_delay_alu instid0(VALU_DEP_2) | instskip(NEXT) | instid1(VALU_DEP_2)
	v_lshlrev_b32_e32 v13, 5, v9
	v_sub_nc_u16 v14, v39, v14
	s_clause 0x1
	global_load_b128 v[44:47], v13, s[8:9]
	global_load_b128 v[48:51], v13, s[8:9] offset:16
	v_and_b32_e32 v83, 0xffff, v14
	s_delay_alu instid0(VALU_DEP_1)
	v_lshlrev_b32_e32 v13, 5, v83
	s_clause 0x1
	global_load_b128 v[52:55], v13, s[8:9]
	global_load_b128 v[56:59], v13, s[8:9] offset:16
	ds_load_b32 v84, v22
	ds_load_2addr_b32 v[70:71], v20 offset0:113 offset1:238
	ds_load_2addr_b32 v[72:73], v29 offset0:101 offset1:226
	;; [unrolled: 1-line block ×3, first 2 shown]
	ds_load_b32 v85, v25
	ds_load_2addr_b32 v[76:77], v26 offset0:107 offset1:232
	ds_load_b32 v15, v21
	ds_load_b32 v14, v24
	ds_load_2addr_b32 v[78:79], v28 offset0:89 offset1:214
	ds_load_b32 v13, v27
	global_wb scope:SCOPE_SE
	s_wait_loadcnt_dscnt 0x0
	s_barrier_signal -1
	s_barrier_wait -1
	global_inv scope:SCOPE_SE
	v_mul_f32_e32 v86, v84, v31
	v_mul_f32_e32 v31, v19, v31
	;; [unrolled: 1-line block ×7, first 2 shown]
	v_dual_mul_f32 v43, v65, v43 :: v_dual_fmac_f32 v86, v19, v30
	v_fma_f32 v30, v84, v30, -v31
	v_dual_fmac_f32 v87, v61, v32 :: v_dual_lshlrev_b32 v34, 2, v34
	v_fma_f32 v32, v71, v32, -v33
	v_fmac_f32_e32 v88, v62, v40
	v_fma_f32 v40, v72, v40, -v41
	v_fmac_f32_e32 v89, v65, v42
	v_fma_f32 v41, v75, v42, -v43
	v_lshlrev_b32_e32 v9, 2, v9
	v_mul_f32_e32 v90, v85, v45
	v_mul_f32_e32 v19, v80, v45
	;; [unrolled: 1-line block ×4, first 2 shown]
	s_delay_alu instid0(VALU_DEP_4) | instskip(SKIP_2) | instid1(VALU_DEP_4)
	v_dual_mul_f32 v45, v73, v49 :: v_dual_fmac_f32 v90, v80, v44
	v_mul_f32_e32 v42, v68, v51
	v_fma_f32 v19, v85, v44, -v19
	v_fma_f32 v33, v76, v46, -v33
	s_delay_alu instid0(VALU_DEP_4)
	v_fmac_f32_e32 v45, v63, v48
	v_lshlrev_b32_e32 v83, 2, v83
	v_fma_f32 v42, v78, v50, -v42
	v_mul_lo_u16 v11, v11, 41
	v_mul_f32_e32 v43, v70, v53
	v_mul_f32_e32 v44, v74, v57
	;; [unrolled: 1-line block ×7, first 2 shown]
	v_dual_fmac_f32 v31, v66, v46 :: v_dual_sub_f32 v62, v88, v89
	v_dual_mul_f32 v46, v64, v57 :: v_dual_mul_f32 v57, v79, v59
	v_dual_mul_f32 v59, v69, v59 :: v_dual_sub_f32 v66, v87, v88
	v_dual_fmac_f32 v49, v68, v50 :: v_dual_sub_f32 v68, v41, v40
	v_fmac_f32_e32 v43, v60, v52
	v_fmac_f32_e32 v44, v64, v56
	v_fma_f32 v46, v74, v56, -v46
	v_dual_sub_f32 v56, v32, v40 :: v_dual_fmac_f32 v53, v67, v54
	v_add_f32_e32 v60, v86, v89
	v_fma_f32 v50, v77, v54, -v55
	v_add_f32_e32 v54, v87, v88
	v_fma_f32 v47, v73, v48, -v47
	v_fma_f32 v48, v70, v52, -v51
	v_sub_f32_e32 v70, v40, v41
	v_fma_f32 v51, v79, v58, -v59
	v_dual_add_f32 v52, v17, v86 :: v_dual_sub_f32 v55, v30, v41
	v_dual_sub_f32 v61, v87, v86 :: v_dual_sub_f32 v74, v33, v47
	v_dual_add_f32 v64, v32, v40 :: v_dual_fmac_f32 v57, v69, v58
	s_delay_alu instid0(VALU_DEP_3)
	v_add_f32_e32 v52, v52, v87
	v_dual_sub_f32 v58, v86, v87 :: v_dual_add_f32 v63, v15, v30
	v_sub_f32_e32 v76, v49, v45
	v_add_f32_e32 v72, v31, v45
	v_fma_f32 v54, -0.5, v54, v17
	v_sub_f32_e32 v67, v30, v32
	v_dual_add_f32 v69, v30, v41 :: v_dual_sub_f32 v30, v32, v30
	v_sub_f32_e32 v59, v89, v88
	v_dual_sub_f32 v65, v86, v89 :: v_dual_add_f32 v32, v63, v32
	v_dual_sub_f32 v73, v19, v42 :: v_dual_add_f32 v52, v52, v88
	v_fma_f32 v78, -0.5, v64, v15
	v_dual_fmac_f32 v17, -0.5, v60 :: v_dual_add_f32 v30, v30, v70
	v_dual_add_f32 v71, v16, v90 :: v_dual_add_f32 v58, v58, v59
	v_add_f32_e32 v59, v61, v62
	v_fma_f32 v62, -0.5, v72, v16
	v_dual_add_f32 v77, v90, v49 :: v_dual_add_f32 v32, v32, v40
	s_delay_alu instid0(VALU_DEP_4) | instskip(SKIP_2) | instid1(VALU_DEP_4)
	v_dual_add_f32 v61, v71, v31 :: v_dual_add_f32 v52, v52, v89
	v_fmamk_f32 v63, v55, 0xbf737871, v54
	v_fmac_f32_e32 v54, 0x3f737871, v55
	v_add_f32_e32 v32, v32, v41
	v_dual_add_f32 v60, v67, v68 :: v_dual_fmac_f32 v15, -0.5, v69
	v_fmamk_f32 v68, v73, 0xbf737871, v62
	v_dual_fmamk_f32 v40, v65, 0x3f737871, v78 :: v_dual_sub_f32 v75, v90, v31
	v_fmamk_f32 v64, v56, 0x3f737871, v17
	v_dual_fmac_f32 v17, 0xbf737871, v56 :: v_dual_fmac_f32 v16, -0.5, v77
	v_fmac_f32_e32 v78, 0xbf737871, v65
	v_dual_add_f32 v61, v61, v45 :: v_dual_fmac_f32 v54, 0x3f167918, v56
	v_fmamk_f32 v67, v66, 0xbf737871, v15
	v_dual_fmac_f32 v63, 0xbf167918, v56 :: v_dual_fmac_f32 v64, 0xbf167918, v55
	v_dual_fmac_f32 v17, 0x3f167918, v55 :: v_dual_fmac_f32 v40, 0x3f167918, v66
	v_dual_fmac_f32 v68, 0xbf167918, v74 :: v_dual_add_f32 v41, v75, v76
	v_dual_fmac_f32 v15, 0x3f737871, v66 :: v_dual_fmac_f32 v62, 0x3f737871, v73
	v_fmac_f32_e32 v78, 0xbf167918, v66
	v_dual_fmac_f32 v67, 0x3f167918, v65 :: v_dual_sub_f32 v56, v31, v90
	v_dual_fmac_f32 v63, 0x3e9e377a, v58 :: v_dual_fmac_f32 v64, 0x3e9e377a, v59
	v_dual_fmac_f32 v54, 0x3e9e377a, v58 :: v_dual_fmac_f32 v17, 0x3e9e377a, v59
	v_dual_fmac_f32 v68, 0x3e9e377a, v41 :: v_dual_add_f32 v59, v14, v19
	v_dual_fmamk_f32 v55, v74, 0x3f737871, v16 :: v_dual_sub_f32 v58, v45, v49
	v_fmac_f32_e32 v15, 0xbf167918, v65
	v_dual_fmac_f32 v40, 0x3e9e377a, v60 :: v_dual_fmac_f32 v67, 0x3e9e377a, v30
	v_fmac_f32_e32 v78, 0x3e9e377a, v60
	v_fmac_f32_e32 v62, 0x3f167918, v74
	v_dual_add_f32 v60, v33, v47 :: v_dual_fmac_f32 v55, 0xbf167918, v73
	v_add_f32_e32 v56, v56, v58
	v_dual_add_f32 v58, v59, v33 :: v_dual_fmac_f32 v15, 0x3e9e377a, v30
	v_add_f32_e32 v30, v61, v49
	v_dual_fmac_f32 v16, 0xbf737871, v74 :: v_dual_sub_f32 v31, v31, v45
	v_fma_f32 v66, -0.5, v60, v14
	v_sub_f32_e32 v49, v90, v49
	v_dual_fmac_f32 v62, 0x3e9e377a, v41 :: v_dual_sub_f32 v59, v42, v47
	s_delay_alu instid0(VALU_DEP_4) | instskip(NEXT) | instid1(VALU_DEP_3)
	v_dual_add_f32 v41, v58, v47 :: v_dual_fmac_f32 v16, 0x3f167918, v73
	v_dual_fmamk_f32 v69, v49, 0x3f737871, v66 :: v_dual_add_f32 v58, v19, v42
	s_delay_alu instid0(VALU_DEP_2) | instskip(NEXT) | instid1(VALU_DEP_3)
	v_dual_fmac_f32 v66, 0xbf737871, v49 :: v_dual_add_f32 v41, v41, v42
	v_dual_sub_f32 v45, v19, v33 :: v_dual_fmac_f32 v16, 0x3e9e377a, v56
	s_delay_alu instid0(VALU_DEP_3) | instskip(SKIP_1) | instid1(VALU_DEP_3)
	v_dual_fmac_f32 v14, -0.5, v58 :: v_dual_fmac_f32 v69, 0x3f167918, v31
	v_sub_f32_e32 v19, v33, v19
	v_add_f32_e32 v45, v45, v59
	v_dual_sub_f32 v33, v47, v42 :: v_dual_fmac_f32 v66, 0xbf167918, v31
	s_delay_alu instid0(VALU_DEP_4) | instskip(NEXT) | instid1(VALU_DEP_3)
	v_fmamk_f32 v70, v31, 0xbf737871, v14
	v_dual_add_f32 v42, v53, v44 :: v_dual_fmac_f32 v69, 0x3e9e377a, v45
	s_delay_alu instid0(VALU_DEP_3) | instskip(NEXT) | instid1(VALU_DEP_3)
	v_dual_add_f32 v19, v19, v33 :: v_dual_fmac_f32 v14, 0x3f737871, v31
	v_dual_fmac_f32 v70, 0x3f167918, v49 :: v_dual_add_f32 v31, v12, v43
	s_delay_alu instid0(VALU_DEP_3) | instskip(SKIP_2) | instid1(VALU_DEP_4)
	v_fma_f32 v33, -0.5, v42, v12
	v_dual_sub_f32 v42, v48, v51 :: v_dual_fmac_f32 v55, 0x3e9e377a, v56
	v_dual_fmac_f32 v66, 0x3e9e377a, v45 :: v_dual_sub_f32 v47, v50, v46
	v_dual_fmac_f32 v70, 0x3e9e377a, v19 :: v_dual_add_f32 v31, v31, v53
	v_fmac_f32_e32 v14, 0xbf167918, v49
	s_delay_alu instid0(VALU_DEP_4) | instskip(SKIP_3) | instid1(VALU_DEP_4)
	v_dual_fmamk_f32 v45, v42, 0xbf737871, v33 :: v_dual_sub_f32 v56, v57, v44
	v_sub_f32_e32 v49, v43, v53
	v_dual_fmac_f32 v33, 0x3f737871, v42 :: v_dual_add_f32 v58, v43, v57
	v_add_f32_e32 v31, v31, v44
	v_fmac_f32_e32 v45, 0xbf167918, v47
	s_delay_alu instid0(VALU_DEP_4) | instskip(NEXT) | instid1(VALU_DEP_4)
	v_dual_add_f32 v49, v49, v56 :: v_dual_fmac_f32 v14, 0x3e9e377a, v19
	v_dual_fmac_f32 v33, 0x3f167918, v47 :: v_dual_add_f32 v56, v50, v46
	s_delay_alu instid0(VALU_DEP_4) | instskip(NEXT) | instid1(VALU_DEP_2)
	v_dual_fmac_f32 v12, -0.5, v58 :: v_dual_add_f32 v19, v31, v57
	v_dual_sub_f32 v58, v53, v43 :: v_dual_fmac_f32 v33, 0x3e9e377a, v49
	v_sub_f32_e32 v59, v44, v57
	v_fmac_f32_e32 v45, 0x3e9e377a, v49
	s_delay_alu instid0(VALU_DEP_4) | instskip(SKIP_2) | instid1(VALU_DEP_3)
	v_dual_fmamk_f32 v31, v47, 0x3f737871, v12 :: v_dual_sub_f32 v44, v53, v44
	v_dual_add_f32 v49, v13, v48 :: v_dual_fmac_f32 v12, 0xbf737871, v47
	v_sub_f32_e32 v53, v48, v50
	v_fmac_f32_e32 v31, 0xbf167918, v42
	v_mul_lo_u16 v2, v2, 41
	s_delay_alu instid0(VALU_DEP_4) | instskip(SKIP_4) | instid1(VALU_DEP_2)
	v_fmac_f32_e32 v12, 0x3f167918, v42
	v_add_f32_e32 v47, v49, v50
	v_fma_f32 v49, -0.5, v56, v13
	v_add_f32_e32 v56, v58, v59
	v_lshrrev_b16 v77, 10, v2
	v_fmac_f32_e32 v12, 0x3e9e377a, v56
	v_add_f32_e32 v42, v47, v46
	v_sub_f32_e32 v43, v43, v57
	v_dual_add_f32 v57, v48, v51 :: v_dual_sub_f32 v48, v50, v48
	s_delay_alu instid0(VALU_DEP_3) | instskip(NEXT) | instid1(VALU_DEP_3)
	v_dual_fmac_f32 v31, 0x3e9e377a, v56 :: v_dual_add_f32 v42, v42, v51
	v_fmamk_f32 v47, v43, 0x3f737871, v49
	v_sub_f32_e32 v56, v51, v46
	s_delay_alu instid0(VALU_DEP_4) | instskip(SKIP_1) | instid1(VALU_DEP_4)
	v_dual_sub_f32 v46, v46, v51 :: v_dual_fmac_f32 v13, -0.5, v57
	v_fmac_f32_e32 v49, 0xbf737871, v43
	v_fmac_f32_e32 v47, 0x3f167918, v44
	s_delay_alu instid0(VALU_DEP_3) | instskip(NEXT) | instid1(VALU_DEP_3)
	v_dual_add_f32 v50, v53, v56 :: v_dual_fmamk_f32 v71, v44, 0xbf737871, v13
	v_fmac_f32_e32 v49, 0xbf167918, v44
	v_dual_fmac_f32 v13, 0x3f737871, v44 :: v_dual_add_f32 v44, v48, v46
	v_and_b32_e32 v46, 0xffff, v81
	s_delay_alu instid0(VALU_DEP_4) | instskip(SKIP_1) | instid1(VALU_DEP_4)
	v_fmac_f32_e32 v71, 0x3f167918, v43
	v_fmac_f32_e32 v47, 0x3e9e377a, v50
	;; [unrolled: 1-line block ×3, first 2 shown]
	s_delay_alu instid0(VALU_DEP_4) | instskip(NEXT) | instid1(VALU_DEP_4)
	v_mad_u32_u24 v43, 0x64, v46, 0
	v_fmac_f32_e32 v71, 0x3e9e377a, v44
	s_delay_alu instid0(VALU_DEP_3) | instskip(SKIP_1) | instid1(VALU_DEP_4)
	v_fmac_f32_e32 v13, 0x3e9e377a, v44
	v_add3_u32 v44, v3, v9, v18
	v_add3_u32 v34, v43, v34, v18
	v_mad_u32_u24 v43, 0x64, v82, 0
	ds_store_2addr_b32 v34, v52, v63 offset1:5
	ds_store_2addr_b32 v34, v64, v17 offset0:10 offset1:15
	v_add3_u32 v17, v43, v83, v18
	ds_store_b32 v34, v54 offset:80
	ds_store_2addr_b32 v44, v30, v68 offset1:5
	ds_store_2addr_b32 v44, v55, v16 offset0:10 offset1:15
	ds_store_b32 v44, v62 offset:80
	ds_store_2addr_b32 v17, v19, v45 offset1:5
	ds_store_2addr_b32 v17, v31, v12 offset0:10 offset1:15
	ds_store_b32 v17, v33 offset:80
	global_wb scope:SCOPE_SE
	s_wait_dscnt 0x0
	s_barrier_signal -1
	s_barrier_wait -1
	global_inv scope:SCOPE_SE
	ds_load_2addr_b32 v[56:57], v20 offset0:113 offset1:238
	ds_load_2addr_b32 v[58:59], v29 offset0:101 offset1:226
	;; [unrolled: 1-line block ×5, first 2 shown]
	ds_load_b32 v12, v21
	ds_load_b32 v19, v22
	;; [unrolled: 1-line block ×5, first 2 shown]
	global_wb scope:SCOPE_SE
	s_wait_dscnt 0x0
	s_barrier_signal -1
	s_barrier_wait -1
	global_inv scope:SCOPE_SE
	v_mul_u32_u24_e32 v16, 0x47af, v1
	ds_store_2addr_b32 v34, v32, v40 offset1:5
	ds_store_2addr_b32 v34, v67, v15 offset0:10 offset1:15
	ds_store_b32 v34, v78 offset:80
	v_lshrrev_b16 v34, 10, v11
	ds_store_2addr_b32 v44, v41, v69 offset1:5
	ds_store_2addr_b32 v44, v70, v14 offset0:10 offset1:15
	v_fmac_f32_e32 v49, 0x3e9e377a, v50
	v_lshrrev_b32_e32 v11, 16, v16
	ds_store_b32 v44, v66 offset:80
	ds_store_2addr_b32 v17, v42, v47 offset1:5
	v_mul_lo_u16 v14, v34, 25
	ds_store_2addr_b32 v17, v71, v13 offset0:10 offset1:15
	ds_store_b32 v17, v49 offset:80
	v_mul_lo_u16 v13, v77, 25
	v_sub_nc_u16 v15, v39, v11
	global_wb scope:SCOPE_SE
	s_wait_dscnt 0x0
	v_sub_nc_u16 v2, v35, v14
	s_barrier_signal -1
	s_barrier_wait -1
	v_lshrrev_b16 v14, 1, v15
	global_inv scope:SCOPE_SE
	v_and_b32_e32 v74, 0xff, v2
	v_add_nc_u16 v2, v14, v11
	v_sub_nc_u16 v11, v37, v13
	s_delay_alu instid0(VALU_DEP_3) | instskip(NEXT) | instid1(VALU_DEP_3)
	v_lshlrev_b32_e32 v13, 5, v74
	v_lshrrev_b16 v78, 4, v2
	s_delay_alu instid0(VALU_DEP_3)
	v_and_b32_e32 v11, 0xff, v11
	s_clause 0x1
	global_load_b128 v[14:17], v13, s[8:9] offset:160
	global_load_b128 v[30:33], v13, s[8:9] offset:176
	v_mul_lo_u16 v2, v78, 25
	v_lshlrev_b32_e32 v44, 5, v11
	v_lshlrev_b32_e32 v82, 2, v11
	s_delay_alu instid0(VALU_DEP_3) | instskip(SKIP_4) | instid1(VALU_DEP_1)
	v_sub_nc_u16 v2, v39, v2
	s_clause 0x1
	global_load_b128 v[40:43], v44, s[8:9] offset:160
	global_load_b128 v[44:47], v44, s[8:9] offset:176
	v_and_b32_e32 v75, 0xffff, v2
	v_lshlrev_b32_e32 v2, 5, v75
	s_clause 0x1
	global_load_b128 v[48:51], v2, s[8:9] offset:160
	global_load_b128 v[52:55], v2, s[8:9] offset:176
	ds_load_b32 v79, v22
	ds_load_2addr_b32 v[66:67], v20 offset0:113 offset1:238
	ds_load_2addr_b32 v[68:69], v29 offset0:101 offset1:226
	ds_load_2addr_b32 v[70:71], v23 offset0:95 offset1:220
	ds_load_b32 v80, v25
	ds_load_2addr_b32 v[72:73], v26 offset0:107 offset1:232
	ds_load_b32 v13, v21
	ds_load_b32 v2, v24
	s_wait_loadcnt_dscnt 0x507
	v_mul_f32_e32 v84, v79, v15
	v_mul_f32_e32 v15, v19, v15
	s_wait_loadcnt_dscnt 0x405
	v_mul_f32_e32 v86, v68, v31
	s_delay_alu instid0(VALU_DEP_3) | instskip(NEXT) | instid1(VALU_DEP_3)
	v_fmac_f32_e32 v84, v19, v14
	v_fma_f32 v14, v79, v14, -v15
	s_wait_dscnt 0x4
	s_delay_alu instid0(VALU_DEP_3) | instskip(SKIP_3) | instid1(VALU_DEP_3)
	v_dual_mul_f32 v87, v71, v33 :: v_dual_fmac_f32 v86, v58, v30
	v_mul_f32_e32 v85, v67, v17
	v_mul_f32_e32 v17, v57, v17
	s_wait_loadcnt_dscnt 0x303
	v_dual_mul_f32 v88, v80, v41 :: v_dual_fmac_f32 v87, v61, v32
	v_lshlrev_b32_e32 v81, 2, v74
	v_lshlrev_b32_e32 v83, 2, v75
	ds_load_2addr_b32 v[74:75], v28 offset0:89 offset1:214
	ds_load_b32 v11, v27
	v_dual_mul_f32 v31, v58, v31 :: v_dual_fmac_f32 v88, v76, v40
	s_wait_dscnt 0x3
	v_dual_mul_f32 v19, v62, v43 :: v_dual_add_f32 v58, v13, v14
	v_fmac_f32_e32 v85, v57, v16
	v_fma_f32 v16, v67, v16, -v17
	s_wait_loadcnt 0x2
	v_mul_f32_e32 v17, v59, v45
	v_mul_f32_e32 v41, v76, v41
	v_fma_f32 v19, v72, v42, -v19
	v_fma_f32 v30, v68, v30, -v31
	global_wb scope:SCOPE_SE
	s_wait_loadcnt_dscnt 0x0
	v_fma_f32 v17, v69, v44, -v17
	v_mul_f32_e32 v89, v72, v43
	v_fma_f32 v40, v80, v40, -v41
	s_barrier_signal -1
	s_barrier_wait -1
	v_add_f32_e32 v76, v19, v17
	global_inv scope:SCOPE_SE
	v_mul_f32_e32 v43, v74, v47
	s_delay_alu instid0(VALU_DEP_1) | instskip(SKIP_2) | instid1(VALU_DEP_3)
	v_fmac_f32_e32 v43, v64, v46
	v_mul_f32_e32 v15, v69, v45
	v_mul_f32_e32 v45, v64, v47
	v_dual_mul_f32 v47, v66, v49 :: v_dual_add_f32 v72, v88, v43
	s_delay_alu instid0(VALU_DEP_3) | instskip(NEXT) | instid1(VALU_DEP_3)
	v_fmac_f32_e32 v15, v59, v44
	v_fma_f32 v44, v74, v46, -v45
	s_delay_alu instid0(VALU_DEP_2) | instskip(NEXT) | instid1(VALU_DEP_2)
	v_dual_mul_f32 v33, v61, v33 :: v_dual_sub_f32 v74, v15, v43
	v_sub_f32_e32 v68, v40, v44
	s_delay_alu instid0(VALU_DEP_2) | instskip(SKIP_4) | instid1(VALU_DEP_4)
	v_fma_f32 v31, v71, v32, -v33
	v_mul_f32_e32 v32, v56, v49
	v_fmac_f32_e32 v47, v56, v48
	v_sub_f32_e32 v56, v85, v84
	v_dual_mul_f32 v33, v73, v51 :: v_dual_add_f32 v90, v40, v44
	v_fma_f32 v32, v66, v48, -v32
	v_dual_add_f32 v48, v12, v84 :: v_dual_mul_f32 v41, v75, v55
	v_dual_add_f32 v92, v3, v47 :: v_dual_sub_f32 v61, v85, v86
	v_add_f32_e32 v59, v16, v30
	s_delay_alu instid0(VALU_DEP_3) | instskip(SKIP_2) | instid1(VALU_DEP_3)
	v_dual_add_f32 v48, v48, v85 :: v_dual_sub_f32 v57, v86, v87
	v_dual_add_f32 v64, v14, v31 :: v_dual_sub_f32 v91, v17, v44
	v_add_f32_e32 v66, v9, v88
	v_add_f32_e32 v48, v48, v86
	v_dual_fmac_f32 v89, v62, v42 :: v_dual_mul_f32 v42, v65, v55
	v_dual_add_f32 v55, v84, v87 :: v_dual_sub_f32 v62, v14, v16
	s_delay_alu instid0(VALU_DEP_3) | instskip(NEXT) | instid1(VALU_DEP_3)
	v_dual_sub_f32 v69, v19, v17 :: v_dual_add_f32 v48, v48, v87
	v_fma_f32 v42, v75, v54, -v42
	v_mul_f32_e32 v49, v63, v51
	v_mul_f32_e32 v51, v70, v53
	;; [unrolled: 1-line block ×3, first 2 shown]
	s_delay_alu instid0(VALU_DEP_4) | instskip(NEXT) | instid1(VALU_DEP_4)
	v_dual_add_f32 v75, v2, v40 :: v_dual_sub_f32 v94, v32, v42
	v_fma_f32 v45, v73, v50, -v49
	v_add_f32_e32 v49, v85, v86
	s_delay_alu instid0(VALU_DEP_4) | instskip(NEXT) | instid1(VALU_DEP_2)
	v_fma_f32 v46, v70, v52, -v53
	v_fma_f32 v49, -0.5, v49, v12
	v_dual_sub_f32 v53, v84, v85 :: v_dual_fmac_f32 v12, -0.5, v55
	v_fmac_f32_e32 v51, v60, v52
	v_sub_f32_e32 v52, v16, v30
	v_sub_f32_e32 v60, v84, v87
	v_dual_sub_f32 v84, v40, v19 :: v_dual_fmac_f32 v33, v63, v50
	v_sub_f32_e32 v50, v14, v31
	v_sub_f32_e32 v14, v16, v14
	v_dual_sub_f32 v40, v19, v40 :: v_dual_fmac_f32 v41, v65, v54
	v_sub_f32_e32 v54, v87, v86
	v_add_f32_e32 v16, v58, v16
	v_sub_f32_e32 v65, v30, v31
	s_delay_alu instid0(VALU_DEP_3) | instskip(NEXT) | instid1(VALU_DEP_3)
	v_dual_add_f32 v53, v53, v54 :: v_dual_add_f32 v54, v56, v57
	v_add_f32_e32 v16, v16, v30
	s_delay_alu instid0(VALU_DEP_3) | instskip(SKIP_4) | instid1(VALU_DEP_4)
	v_add_f32_e32 v14, v14, v65
	v_dual_sub_f32 v80, v89, v15 :: v_dual_sub_f32 v63, v31, v30
	v_fma_f32 v56, -0.5, v59, v13
	v_sub_f32_e32 v70, v88, v89
	v_add_f32_e32 v16, v16, v31
	v_add_f32_e32 v55, v62, v63
	v_fma_f32 v63, -0.5, v76, v2
	v_dual_fmac_f32 v2, -0.5, v90 :: v_dual_add_f32 v67, v89, v15
	v_fmamk_f32 v30, v60, 0x3f737871, v56
	v_fmac_f32_e32 v56, 0xbf737871, v60
	s_delay_alu instid0(VALU_DEP_3) | instskip(SKIP_2) | instid1(VALU_DEP_1)
	v_fma_f32 v58, -0.5, v67, v9
	v_fmamk_f32 v67, v52, 0x3f737871, v12
	v_fmac_f32_e32 v12, 0xbf737871, v52
	v_dual_sub_f32 v73, v89, v88 :: v_dual_fmac_f32 v12, 0x3f167918, v50
	v_add_f32_e32 v57, v66, v89
	v_dual_fmamk_f32 v66, v50, 0xbf737871, v49 :: v_dual_sub_f32 v71, v43, v15
	s_delay_alu instid0(VALU_DEP_3) | instskip(NEXT) | instid1(VALU_DEP_3)
	v_add_f32_e32 v62, v73, v74
	v_dual_fmac_f32 v12, 0x3e9e377a, v54 :: v_dual_add_f32 v15, v57, v15
	v_fmamk_f32 v57, v68, 0xbf737871, v58
	v_fmac_f32_e32 v58, 0x3f737871, v68
	v_dual_fmac_f32 v66, 0xbf167918, v52 :: v_dual_sub_f32 v79, v88, v43
	v_fmac_f32_e32 v30, 0x3f167918, v61
	v_sub_f32_e32 v88, v44, v17
	s_delay_alu instid0(VALU_DEP_4) | instskip(NEXT) | instid1(VALU_DEP_4)
	v_fmac_f32_e32 v58, 0x3f167918, v69
	v_dual_fmac_f32 v66, 0x3e9e377a, v53 :: v_dual_fmac_f32 v9, -0.5, v72
	s_delay_alu instid0(VALU_DEP_4) | instskip(SKIP_3) | instid1(VALU_DEP_3)
	v_fmac_f32_e32 v30, 0x3e9e377a, v55
	v_dual_fmamk_f32 v72, v80, 0xbf737871, v2 :: v_dual_fmac_f32 v13, -0.5, v64
	v_dual_add_f32 v59, v70, v71 :: v_dual_fmac_f32 v56, 0xbf167918, v61
	v_add_f32_e32 v40, v40, v91
	v_fmac_f32_e32 v72, 0x3f167918, v79
	s_delay_alu instid0(VALU_DEP_4) | instskip(SKIP_2) | instid1(VALU_DEP_3)
	v_dual_add_f32 v19, v75, v19 :: v_dual_fmamk_f32 v70, v61, 0xbf737871, v13
	v_dual_add_f32 v64, v84, v88 :: v_dual_add_f32 v93, v33, v51
	v_fmac_f32_e32 v13, 0x3f737871, v61
	v_dual_fmac_f32 v72, 0x3e9e377a, v40 :: v_dual_add_f32 v17, v19, v17
	v_fmac_f32_e32 v56, 0x3e9e377a, v55
	v_fmac_f32_e32 v70, 0x3f167918, v60
	v_dual_fmac_f32 v49, 0x3f737871, v50 :: v_dual_fmac_f32 v2, 0x3f737871, v80
	v_fma_f32 v65, -0.5, v93, v3
	s_delay_alu instid0(VALU_DEP_3)
	v_dual_fmac_f32 v70, 0x3e9e377a, v14 :: v_dual_add_f32 v31, v17, v44
	v_fmac_f32_e32 v58, 0x3e9e377a, v59
	v_dual_sub_f32 v44, v47, v33 :: v_dual_fmac_f32 v67, 0xbf167918, v50
	v_fmac_f32_e32 v2, 0xbf167918, v79
	v_dual_sub_f32 v50, v41, v51 :: v_dual_fmac_f32 v13, 0xbf167918, v60
	v_fmamk_f32 v71, v69, 0x3f737871, v9
	v_fmac_f32_e32 v9, 0xbf737871, v69
	s_delay_alu instid0(VALU_DEP_4) | instskip(NEXT) | instid1(VALU_DEP_4)
	v_fmac_f32_e32 v2, 0x3e9e377a, v40
	v_add_f32_e32 v44, v44, v50
	v_dual_fmac_f32 v13, 0x3e9e377a, v14 :: v_dual_add_f32 v14, v92, v33
	v_dual_fmac_f32 v49, 0x3f167918, v52 :: v_dual_add_f32 v52, v47, v41
	v_add_f32_e32 v15, v15, v43
	s_delay_alu instid0(VALU_DEP_3) | instskip(SKIP_1) | instid1(VALU_DEP_4)
	v_dual_sub_f32 v43, v45, v46 :: v_dual_add_f32 v14, v14, v51
	v_fmamk_f32 v19, v79, 0x3f737871, v63
	v_dual_fmac_f32 v3, -0.5, v52 :: v_dual_sub_f32 v52, v33, v47
	s_delay_alu instid0(VALU_DEP_3) | instskip(SKIP_1) | instid1(VALU_DEP_3)
	v_dual_sub_f32 v33, v33, v51 :: v_dual_add_f32 v14, v14, v41
	v_dual_fmac_f32 v63, 0xbf737871, v79 :: v_dual_add_f32 v50, v45, v46
	v_fmamk_f32 v40, v43, 0x3f737871, v3
	v_fmac_f32_e32 v57, 0xbf167918, v69
	v_fmac_f32_e32 v3, 0xbf737871, v43
	;; [unrolled: 1-line block ×6, first 2 shown]
	v_sub_f32_e32 v53, v51, v41
	v_sub_f32_e32 v41, v47, v41
	v_fmamk_f32 v17, v94, 0xbf737871, v65
	v_fmac_f32_e32 v65, 0x3f737871, v94
	v_fmac_f32_e32 v3, 0x3f167918, v94
	s_delay_alu instid0(VALU_DEP_3) | instskip(NEXT) | instid1(VALU_DEP_3)
	v_fmac_f32_e32 v17, 0xbf167918, v43
	v_fmac_f32_e32 v65, 0x3f167918, v43
	s_delay_alu instid0(VALU_DEP_2) | instskip(NEXT) | instid1(VALU_DEP_2)
	v_fmac_f32_e32 v17, 0x3e9e377a, v44
	v_fmac_f32_e32 v65, 0x3e9e377a, v44
	v_add_f32_e32 v44, v11, v32
	v_fmac_f32_e32 v9, 0x3f167918, v68
	s_delay_alu instid0(VALU_DEP_2) | instskip(SKIP_2) | instid1(VALU_DEP_3)
	v_add_f32_e32 v43, v44, v45
	v_fma_f32 v44, -0.5, v50, v11
	v_add_f32_e32 v50, v32, v42
	v_add_f32_e32 v43, v43, v46
	s_delay_alu instid0(VALU_DEP_2) | instskip(SKIP_1) | instid1(VALU_DEP_3)
	v_fmac_f32_e32 v11, -0.5, v50
	v_sub_f32_e32 v50, v42, v46
	v_add_f32_e32 v43, v43, v42
	v_sub_f32_e32 v42, v46, v42
	s_delay_alu instid0(VALU_DEP_4) | instskip(SKIP_1) | instid1(VALU_DEP_2)
	v_dual_fmamk_f32 v60, v33, 0xbf737871, v11 :: v_dual_add_f32 v47, v52, v53
	v_fmac_f32_e32 v11, 0x3f737871, v33
	v_dual_fmac_f32 v9, 0x3e9e377a, v62 :: v_dual_fmac_f32 v40, 0x3e9e377a, v47
	v_fmac_f32_e32 v3, 0x3e9e377a, v47
	v_dual_sub_f32 v47, v32, v45 :: v_dual_sub_f32 v32, v45, v32
	v_fmac_f32_e32 v57, 0x3e9e377a, v59
	v_fmamk_f32 v59, v41, 0x3f737871, v44
	v_fmac_f32_e32 v44, 0xbf737871, v41
	s_delay_alu instid0(VALU_DEP_4) | instskip(SKIP_1) | instid1(VALU_DEP_4)
	v_dual_fmac_f32 v63, 0xbf167918, v80 :: v_dual_add_f32 v32, v32, v42
	v_add_f32_e32 v45, v47, v50
	v_fmac_f32_e32 v59, 0x3f167918, v33
	s_delay_alu instid0(VALU_DEP_4)
	v_fmac_f32_e32 v44, 0xbf167918, v33
	v_and_b32_e32 v33, 0xffff, v34
	v_and_b32_e32 v34, 0xffff, v78
	v_fmac_f32_e32 v63, 0x3e9e377a, v64
	v_fmac_f32_e32 v59, 0x3e9e377a, v45
	;; [unrolled: 1-line block ×3, first 2 shown]
	v_mad_u32_u24 v33, 0x1f4, v33, 0
	v_mad_u32_u24 v34, 0x1f4, v34, 0
	s_delay_alu instid0(VALU_DEP_2)
	v_add3_u32 v33, v33, v81, v18
	ds_store_2addr_b32 v33, v48, v66 offset1:25
	ds_store_2addr_b32 v33, v67, v12 offset0:50 offset1:75
	v_add_nc_u32_e32 v66, 0x200, v0
	v_dual_fmac_f32 v19, 0x3f167918, v80 :: v_dual_fmac_f32 v60, 0x3f167918, v41
	v_fmac_f32_e32 v11, 0xbf167918, v41
	v_fmac_f32_e32 v71, 0x3e9e377a, v62
	v_add3_u32 v34, v34, v83, v18
	s_delay_alu instid0(VALU_DEP_4) | instskip(SKIP_3) | instid1(VALU_DEP_1)
	v_fmac_f32_e32 v19, 0x3e9e377a, v64
	v_fmac_f32_e32 v60, 0x3e9e377a, v32
	;; [unrolled: 1-line block ×3, first 2 shown]
	v_and_b32_e32 v32, 0xffff, v77
	v_mad_u32_u24 v32, 0x1f4, v32, 0
	s_delay_alu instid0(VALU_DEP_1)
	v_add3_u32 v32, v32, v82, v18
	ds_store_b32 v33, v49 offset:400
	ds_store_2addr_b32 v32, v15, v57 offset1:25
	ds_store_2addr_b32 v32, v71, v9 offset0:50 offset1:75
	ds_store_b32 v32, v58 offset:400
	ds_store_2addr_b32 v34, v14, v17 offset1:25
	ds_store_2addr_b32 v34, v40, v3 offset0:50 offset1:75
	ds_store_b32 v34, v65 offset:400
	v_mul_u32_u24_e32 v9, 0x625, v1
	global_wb scope:SCOPE_SE
	s_wait_dscnt 0x0
	s_barrier_signal -1
	s_barrier_wait -1
	global_inv scope:SCOPE_SE
	v_lshrrev_b32_e32 v14, 16, v9
	ds_load_2addr_b32 v[17:18], v20 offset0:113 offset1:238
	ds_load_2addr_b32 v[48:49], v29 offset0:101 offset1:226
	;; [unrolled: 1-line block ×5, first 2 shown]
	ds_load_b32 v12, v21
	ds_load_b32 v64, v22
	;; [unrolled: 1-line block ×5, first 2 shown]
	global_wb scope:SCOPE_SE
	s_wait_dscnt 0x0
	s_barrier_signal -1
	v_sub_nc_u16 v9, v39, v14
	s_barrier_wait -1
	global_inv scope:SCOPE_SE
	ds_store_2addr_b32 v33, v16, v30 offset1:25
	ds_store_2addr_b32 v33, v70, v13 offset0:50 offset1:75
	ds_store_b32 v33, v56 offset:400
	ds_store_2addr_b32 v32, v31, v19 offset1:25
	ds_store_2addr_b32 v32, v72, v2 offset0:50 offset1:75
	ds_store_b32 v32, v63 offset:400
	ds_store_2addr_b32 v34, v43, v59 offset1:25
	v_lshrrev_b16 v13, 1, v9
	v_mov_b32_e32 v9, 0
	ds_store_2addr_b32 v34, v60, v11 offset0:50 offset1:75
	ds_store_b32 v34, v44 offset:400
	global_wb scope:SCOPE_SE
	s_wait_dscnt 0x0
	s_barrier_signal -1
	v_add_nc_u16 v2, v13, v14
	v_lshlrev_b64_e32 v[13:14], 3, v[8:9]
	s_barrier_wait -1
	global_inv scope:SCOPE_SE
	v_lshrrev_b16 v2, 6, v2
	v_add_co_u32 v30, s0, s8, v13
	s_wait_alu 0xf1ff
	v_add_co_ci_u32_e64 v31, s0, s9, v14, s0
	s_delay_alu instid0(VALU_DEP_3) | instskip(SKIP_4) | instid1(VALU_DEP_1)
	v_mul_lo_u16 v2, 0x7d, v2
	s_clause 0x1
	global_load_b128 v[13:16], v[30:31], off offset:960
	global_load_b128 v[30:33], v[30:31], off offset:976
	v_sub_nc_u16 v2, v39, v2
	v_and_b32_e32 v11, 0xffff, v2
	s_delay_alu instid0(VALU_DEP_1)
	v_lshlrev_b32_e32 v2, 5, v11
	s_clause 0x1
	global_load_b128 v[40:43], v2, s[8:9] offset:960
	global_load_b128 v[44:47], v2, s[8:9] offset:976
	ds_load_b32 v19, v22
	ds_load_2addr_b32 v[56:57], v20 offset0:113 offset1:238
	ds_load_2addr_b32 v[58:59], v29 offset0:101 offset1:226
	;; [unrolled: 1-line block ×3, first 2 shown]
	ds_load_b32 v8, v21
	ds_load_b32 v34, v25
	;; [unrolled: 1-line block ×3, first 2 shown]
	ds_load_2addr_b32 v[62:63], v26 offset0:107 offset1:232
	s_wait_loadcnt_dscnt 0x200
	v_dual_mul_f32 v79, v62, v16 :: v_dual_mul_f32 v80, v59, v31
	v_mul_f32_e32 v70, v19, v14
	v_mul_f32_e32 v78, v34, v14
	;; [unrolled: 1-line block ×4, first 2 shown]
	v_dual_fmac_f32 v80, v49, v30 :: v_dual_mul_f32 v75, v48, v31
	v_fmac_f32_e32 v70, v64, v13
	v_fmac_f32_e32 v78, v65, v13
	v_mul_f32_e32 v76, v61, v33
	v_fmac_f32_e32 v72, v18, v15
	v_fmac_f32_e32 v74, v48, v30
	v_fma_f32 v48, v58, v30, -v75
	s_delay_alu instid0(VALU_DEP_4) | instskip(SKIP_4) | instid1(VALU_DEP_2)
	v_fmac_f32_e32 v76, v51, v32
	s_wait_loadcnt 0x1
	v_mul_f32_e32 v82, v56, v41
	s_wait_loadcnt 0x0
	v_mul_f32_e32 v84, v60, v45
	v_dual_fmac_f32 v82, v17, v40 :: v_dual_fmac_f32 v79, v52, v15
	v_mul_f32_e32 v71, v64, v14
	v_dual_mul_f32 v14, v65, v14 :: v_dual_mul_f32 v73, v18, v16
	v_mul_f32_e32 v16, v52, v16
	s_delay_alu instid0(VALU_DEP_4) | instskip(NEXT) | instid1(VALU_DEP_4)
	v_add_f32_e32 v86, v3, v82
	v_fma_f32 v19, v19, v13, -v71
	s_delay_alu instid0(VALU_DEP_4)
	v_fma_f32 v13, v34, v13, -v14
	v_mul_f32_e32 v31, v49, v31
	v_fma_f32 v14, v62, v15, -v16
	v_sub_f32_e32 v62, v79, v78
	v_fma_f32 v18, v57, v15, -v73
	v_add_f32_e32 v64, v2, v13
	v_fma_f32 v15, v59, v30, -v31
	v_dual_mul_f32 v77, v51, v33 :: v_dual_fmac_f32 v84, v50, v44
	s_delay_alu instid0(VALU_DEP_4) | instskip(NEXT) | instid1(VALU_DEP_3)
	v_dual_sub_f32 v73, v13, v14 :: v_dual_sub_f32 v34, v18, v48
	v_sub_f32_e32 v58, v14, v15
	s_delay_alu instid0(VALU_DEP_3) | instskip(SKIP_1) | instid1(VALU_DEP_2)
	v_fma_f32 v51, v61, v32, -v77
	v_add_nc_u32_e32 v67, 0x600, v0
	v_sub_f32_e32 v52, v51, v48
	v_lshl_add_u32 v68, v11, 2, v10
	ds_load_2addr_b32 v[10:11], v28 offset0:89 offset1:214
	ds_load_b32 v69, v27
	global_wb scope:SCOPE_SE
	s_wait_dscnt 0x0
	s_barrier_signal -1
	s_barrier_wait -1
	global_inv scope:SCOPE_SE
	v_mul_f32_e32 v81, v10, v33
	s_delay_alu instid0(VALU_DEP_1) | instskip(SKIP_1) | instid1(VALU_DEP_1)
	v_fmac_f32_e32 v81, v54, v32
	v_mul_f32_e32 v83, v63, v43
	v_fmac_f32_e32 v83, v53, v42
	v_mul_f32_e32 v41, v17, v41
	s_delay_alu instid0(VALU_DEP_2) | instskip(NEXT) | instid1(VALU_DEP_2)
	v_dual_add_f32 v31, v12, v70 :: v_dual_sub_f32 v90, v82, v83
	v_fma_f32 v16, v56, v40, -v41
	v_mul_f32_e32 v45, v50, v45
	v_dual_sub_f32 v40, v70, v72 :: v_dual_sub_f32 v41, v76, v74
	v_mul_f32_e32 v85, v11, v47
	v_sub_f32_e32 v50, v19, v18
	s_delay_alu instid0(VALU_DEP_2) | instskip(NEXT) | instid1(VALU_DEP_2)
	v_dual_add_f32 v40, v40, v41 :: v_dual_fmac_f32 v85, v55, v46
	v_dual_add_f32 v50, v50, v52 :: v_dual_mul_f32 v47, v55, v47
	v_mul_f32_e32 v43, v53, v43
	s_delay_alu instid0(VALU_DEP_3) | instskip(SKIP_1) | instid1(VALU_DEP_4)
	v_dual_add_f32 v53, v19, v51 :: v_dual_sub_f32 v94, v84, v85
	v_add_f32_e32 v92, v82, v85
	v_fma_f32 v11, v11, v46, -v47
	v_mul_f32_e32 v33, v54, v33
	v_fma_f32 v17, v63, v42, -v43
	v_add_f32_e32 v42, v70, v76
	v_add_f32_e32 v46, v18, v48
	v_sub_f32_e32 v88, v16, v11
	v_fma_f32 v10, v10, v32, -v33
	v_dual_add_f32 v32, v72, v74 :: v_dual_sub_f32 v47, v70, v76
	v_dual_add_f32 v52, v16, v11 :: v_dual_add_f32 v55, v1, v78
	v_sub_f32_e32 v49, v72, v74
	v_sub_f32_e32 v91, v85, v84
	v_sub_f32_e32 v57, v13, v10
	v_fma_f32 v32, -0.5, v32, v12
	v_dual_add_f32 v65, v14, v15 :: v_dual_fmac_f32 v12, -0.5, v42
	v_fma_f32 v46, -0.5, v46, v8
	v_add_f32_e32 v77, v13, v10
	v_dual_sub_f32 v13, v14, v13 :: v_dual_add_f32 v14, v64, v14
	v_dual_sub_f32 v43, v72, v70 :: v_dual_sub_f32 v70, v78, v81
	v_add_f32_e32 v31, v31, v72
	v_add_f32_e32 v72, v69, v16
	v_fma_f32 v30, v60, v44, -v45
	v_sub_f32_e32 v44, v74, v76
	v_sub_f32_e32 v54, v48, v51
	v_dual_sub_f32 v60, v81, v80 :: v_dual_add_f32 v45, v8, v19
	v_sub_f32_e32 v33, v19, v51
	v_dual_sub_f32 v19, v18, v19 :: v_dual_fmac_f32 v8, -0.5, v53
	v_dual_add_f32 v43, v43, v44 :: v_dual_sub_f32 v44, v16, v17
	v_dual_sub_f32 v93, v83, v82 :: v_dual_sub_f32 v82, v82, v85
	v_dual_add_f32 v56, v79, v80 :: v_dual_sub_f32 v59, v78, v79
	v_dual_sub_f32 v16, v17, v16 :: v_dual_sub_f32 v53, v30, v11
	v_add_f32_e32 v19, v19, v54
	v_add_f32_e32 v54, v55, v79
	s_delay_alu instid0(VALU_DEP_4)
	v_fma_f32 v55, -0.5, v56, v1
	v_add_f32_e32 v56, v59, v60
	v_add_f32_e32 v18, v45, v18
	v_sub_f32_e32 v45, v11, v30
	v_add_f32_e32 v61, v78, v81
	v_sub_f32_e32 v63, v80, v81
	v_sub_f32_e32 v71, v79, v80
	s_delay_alu instid0(VALU_DEP_4)
	v_dual_sub_f32 v75, v10, v15 :: v_dual_add_f32 v44, v44, v45
	v_dual_add_f32 v45, v16, v53 :: v_dual_add_f32 v16, v31, v74
	v_fmamk_f32 v31, v33, 0xbf737871, v32
	v_fmac_f32_e32 v32, 0x3f737871, v33
	v_fma_f32 v60, -0.5, v65, v2
	v_add_f32_e32 v18, v18, v48
	v_fmamk_f32 v48, v47, 0x3f737871, v46
	v_fmac_f32_e32 v46, 0xbf737871, v47
	v_dual_fmac_f32 v2, -0.5, v77 :: v_dual_add_f32 v41, v17, v30
	v_dual_add_f32 v87, v83, v84 :: v_dual_fmamk_f32 v74, v70, 0x3f737871, v60
	v_dual_fmac_f32 v1, -0.5, v61 :: v_dual_fmac_f32 v32, 0x3f167918, v34
	s_delay_alu instid0(VALU_DEP_3)
	v_fma_f32 v41, -0.5, v41, v69
	v_dual_fmac_f32 v69, -0.5, v52 :: v_dual_fmamk_f32 v52, v34, 0x3f737871, v12
	v_fmac_f32_e32 v12, 0xbf737871, v34
	v_fmac_f32_e32 v74, 0x3f167918, v71
	v_add_f32_e32 v59, v62, v63
	v_dual_add_f32 v62, v86, v83 :: v_dual_fmamk_f32 v53, v49, 0xbf737871, v8
	s_delay_alu instid0(VALU_DEP_4) | instskip(SKIP_3) | instid1(VALU_DEP_3)
	v_fmac_f32_e32 v12, 0x3f167918, v33
	v_fmac_f32_e32 v8, 0x3f737871, v49
	v_fma_f32 v63, -0.5, v87, v3
	v_dual_sub_f32 v89, v17, v30 :: v_dual_add_f32 v54, v54, v80
	v_dual_fmac_f32 v3, -0.5, v92 :: v_dual_fmac_f32 v8, 0xbf167918, v47
	v_dual_sub_f32 v78, v15, v10 :: v_dual_add_f32 v61, v73, v75
	v_fmac_f32_e32 v48, 0x3f167918, v49
	v_dual_add_f32 v14, v14, v15 :: v_dual_fmamk_f32 v75, v71, 0xbf737871, v2
	v_dual_fmac_f32 v2, 0x3f737871, v71 :: v_dual_add_f32 v15, v62, v84
	v_dual_add_f32 v64, v90, v91 :: v_dual_add_f32 v17, v72, v17
	v_fmamk_f32 v72, v57, 0xbf737871, v55
	v_fmamk_f32 v73, v58, 0x3f737871, v1
	v_fmac_f32_e32 v55, 0x3f737871, v57
	v_fmac_f32_e32 v1, 0xbf737871, v58
	v_fmamk_f32 v62, v88, 0xbf737871, v63
	v_fmac_f32_e32 v72, 0xbf167918, v58
	v_fmamk_f32 v77, v89, 0x3f737871, v3
	v_dual_fmac_f32 v3, 0xbf737871, v89 :: v_dual_sub_f32 v42, v83, v84
	v_dual_add_f32 v13, v13, v78 :: v_dual_fmac_f32 v46, 0xbf167918, v49
	v_fmac_f32_e32 v60, 0xbf737871, v70
	v_fmac_f32_e32 v63, 0x3f737871, v88
	v_fmamk_f32 v78, v82, 0x3f737871, v41
	v_fmac_f32_e32 v53, 0x3f167918, v47
	v_dual_add_f32 v47, v14, v10 :: v_dual_fmac_f32 v32, 0x3e9e377a, v40
	v_fmac_f32_e32 v2, 0xbf167918, v70
	v_dual_add_f32 v10, v15, v85 :: v_dual_fmac_f32 v31, 0xbf167918, v34
	v_fmac_f32_e32 v52, 0xbf167918, v33
	v_fmac_f32_e32 v73, 0xbf167918, v57
	;; [unrolled: 1-line block ×5, first 2 shown]
	v_dual_add_f32 v17, v17, v30 :: v_dual_fmac_f32 v62, 0xbf167918, v89
	v_add_f32_e32 v65, v93, v94
	v_fmac_f32_e32 v77, 0xbf167918, v88
	v_fmac_f32_e32 v3, 0x3f167918, v88
	v_dual_add_f32 v16, v16, v76 :: v_dual_add_f32 v51, v18, v51
	v_fmac_f32_e32 v78, 0x3f167918, v42
	v_add_f32_e32 v18, v54, v81
	v_fmac_f32_e32 v60, 0xbf167918, v71
	v_fmac_f32_e32 v75, 0x3f167918, v70
	;; [unrolled: 1-line block ×3, first 2 shown]
	v_dual_fmac_f32 v31, 0x3e9e377a, v40 :: v_dual_fmac_f32 v52, 0x3e9e377a, v43
	v_dual_fmac_f32 v12, 0x3e9e377a, v43 :: v_dual_fmac_f32 v55, 0x3e9e377a, v56
	;; [unrolled: 1-line block ×3, first 2 shown]
	v_add_nc_u32_e32 v40, 0xa00, v0
	v_fmamk_f32 v79, v42, 0xbf737871, v69
	v_fmac_f32_e32 v69, 0x3f737871, v42
	v_fmac_f32_e32 v41, 0xbf167918, v42
	v_dual_fmac_f32 v1, 0x3e9e377a, v59 :: v_dual_fmac_f32 v74, 0x3e9e377a, v61
	v_add_nc_u32_e32 v42, 0xe00, v0
	v_dual_fmac_f32 v62, 0x3e9e377a, v64 :: v_dual_fmac_f32 v77, 0x3e9e377a, v65
	v_add_nc_u32_e32 v43, 0x1200, v68
	v_dual_add_f32 v49, v17, v11 :: v_dual_fmac_f32 v48, 0x3e9e377a, v50
	v_dual_fmac_f32 v46, 0x3e9e377a, v50 :: v_dual_fmac_f32 v53, 0x3e9e377a, v19
	v_dual_fmac_f32 v3, 0x3e9e377a, v65 :: v_dual_fmac_f32 v78, 0x3e9e377a, v44
	v_add_nc_u32_e32 v50, 0x1600, v68
	v_dual_fmac_f32 v8, 0x3e9e377a, v19 :: v_dual_fmac_f32 v75, 0x3e9e377a, v13
	v_dual_fmac_f32 v60, 0x3e9e377a, v61 :: v_dual_fmac_f32 v63, 0x3e9e377a, v64
	;; [unrolled: 1-line block ×3, first 2 shown]
	ds_store_2addr_b32 v0, v16, v31 offset1:125
	ds_store_2addr_b32 v66, v52, v12 offset0:122 offset1:247
	ds_store_2addr_b32 v67, v32, v18 offset0:116 offset1:241
	ds_store_2addr_b32 v40, v72, v73 offset0:110 offset1:235
	ds_store_2addr_b32 v42, v1, v55 offset0:104 offset1:229
	ds_store_2addr_b32 v43, v10, v62 offset0:98 offset1:223
	ds_store_2addr_b32 v50, v77, v3 offset0:92 offset1:217
	ds_store_b32 v68, v63 offset:7000
	global_wb scope:SCOPE_SE
	s_wait_dscnt 0x0
	s_barrier_signal -1
	s_barrier_wait -1
	global_inv scope:SCOPE_SE
	ds_load_b32 v30, v21
	ds_load_2addr_b32 v[10:11], v20 offset0:113 offset1:238
	ds_load_2addr_b32 v[12:13], v29 offset0:101 offset1:226
	;; [unrolled: 1-line block ×4, first 2 shown]
	ds_load_b32 v32, v27
	ds_load_b32 v34, v25
	;; [unrolled: 1-line block ×4, first 2 shown]
	ds_load_2addr_b32 v[18:19], v28 offset0:89 offset1:214
	v_fmac_f32_e32 v79, 0x3f167918, v82
	v_fmac_f32_e32 v69, 0xbf167918, v82
	global_wb scope:SCOPE_SE
	s_wait_dscnt 0x0
	s_barrier_signal -1
	s_barrier_wait -1
	v_fmac_f32_e32 v79, 0x3e9e377a, v45
	v_fmac_f32_e32 v69, 0x3e9e377a, v45
	global_inv scope:SCOPE_SE
	ds_store_2addr_b32 v0, v51, v48 offset1:125
	ds_store_2addr_b32 v66, v53, v8 offset0:122 offset1:247
	ds_store_2addr_b32 v67, v46, v47 offset0:116 offset1:241
	;; [unrolled: 1-line block ×6, first 2 shown]
	ds_store_b32 v68, v41 offset:7000
	global_wb scope:SCOPE_SE
	s_wait_dscnt 0x0
	s_barrier_signal -1
	s_barrier_wait -1
	global_inv scope:SCOPE_SE
	s_and_saveexec_b32 s0, vcc_lo
	s_cbranch_execz .LBB0_15
; %bb.14:
	v_lshlrev_b32_e32 v8, 1, v38
	v_mul_hi_u32 v54, 0xd1b71759, v35
	v_add_nc_u32_e32 v55, 0x7d, v35
	v_add_nc_u32_e32 v56, 0xfa, v35
	;; [unrolled: 1-line block ×3, first 2 shown]
	v_lshlrev_b64_e32 v[0:1], 3, v[8:9]
	v_lshlrev_b32_e32 v8, 1, v36
	v_add_nc_u32_e32 v58, 0x1f4, v35
	v_mul_hi_u32 v59, 0xd1b71759, v55
	v_mul_hi_u32 v60, 0xd1b71759, v56
	;; [unrolled: 1-line block ×3, first 2 shown]
	v_lshlrev_b64_e32 v[40:41], 3, v[8:9]
	v_add_co_u32 v0, vcc_lo, s8, v0
	s_wait_alu 0xfffd
	v_add_co_ci_u32_e32 v1, vcc_lo, s9, v1, vcc_lo
	v_lshlrev_b32_e32 v8, 1, v39
	s_delay_alu instid0(VALU_DEP_4) | instskip(SKIP_2) | instid1(VALU_DEP_3)
	v_add_co_u32 v40, vcc_lo, s8, v40
	s_wait_alu 0xfffd
	v_add_co_ci_u32_e32 v41, vcc_lo, s9, v41, vcc_lo
	v_lshlrev_b64_e32 v[42:43], 3, v[8:9]
	v_lshlrev_b32_e32 v8, 1, v37
	v_lshrrev_b32_e32 v54, 9, v54
	s_clause 0x1
	global_load_b128 v[38:41], v[40:41], off offset:4960
	global_load_b128 v[0:3], v[0:1], off offset:4960
	v_lshlrev_b64_e32 v[4:5], 3, v[4:5]
	v_lshlrev_b64_e32 v[36:37], 3, v[8:9]
	v_add_co_u32 v42, vcc_lo, s8, v42
	s_wait_alu 0xfffd
	v_add_co_ci_u32_e32 v43, vcc_lo, s9, v43, vcc_lo
	s_delay_alu instid0(VALU_DEP_3)
	v_add_co_u32 v36, vcc_lo, s8, v36
	s_wait_alu 0xfffd
	v_add_co_ci_u32_e32 v37, vcc_lo, s9, v37, vcc_lo
	s_clause 0x1
	global_load_b128 v[42:45], v[42:43], off offset:4960
	global_load_b128 v[46:49], v[36:37], off offset:4960
	v_mul_lo_u32 v36, s3, v6
	v_mul_lo_u32 v37, s2, v7
	v_mad_co_u64_u32 v[6:7], null, s2, v6, 0
	s_delay_alu instid0(VALU_DEP_1)
	v_add3_u32 v7, v7, v37, v36
	v_mul_hi_u32 v36, 0xd1b71759, v58
	v_mul_u32_u24_e32 v37, 0x271, v54
	v_lshrrev_b32_e32 v54, 9, v59
	v_lshrrev_b32_e32 v59, 9, v60
	v_lshrrev_b32_e32 v60, 9, v61
	v_lshlrev_b64_e32 v[6:7], 3, v[6:7]
	v_sub_nc_u32_e32 v37, v35, v37
	v_lshrrev_b32_e32 v61, 9, v36
	s_delay_alu instid0(VALU_DEP_4) | instskip(SKIP_1) | instid1(VALU_DEP_4)
	v_mul_u32_u24_e32 v62, 0x271, v60
	v_mul_u32_u24_e32 v36, 0x271, v59
	v_add_nc_u32_e32 v73, 0x271, v37
	s_delay_alu instid0(VALU_DEP_4) | instskip(NEXT) | instid1(VALU_DEP_4)
	v_mul_u32_u24_e32 v63, 0x271, v61
	v_sub_nc_u32_e32 v57, v57, v62
	s_delay_alu instid0(VALU_DEP_4) | instskip(NEXT) | instid1(VALU_DEP_3)
	v_sub_nc_u32_e32 v56, v56, v36
	v_sub_nc_u32_e32 v58, v58, v63
	s_delay_alu instid0(VALU_DEP_3) | instskip(NEXT) | instid1(VALU_DEP_3)
	v_mad_u32_u24 v82, 0x753, v60, v57
	v_mad_u32_u24 v76, 0x753, v59, v56
	s_delay_alu instid0(VALU_DEP_3) | instskip(NEXT) | instid1(VALU_DEP_3)
	v_mad_u32_u24 v83, 0x753, v61, v58
	v_mad_co_u64_u32 v[58:59], null, s16, v82, 0
	v_lshlrev_b32_e32 v8, 1, v35
	v_mul_u32_u24_e32 v35, 0x271, v54
	v_add_nc_u32_e32 v81, 0x4e2, v76
	v_mad_co_u64_u32 v[56:57], null, s16, v76, 0
	s_delay_alu instid0(VALU_DEP_4) | instskip(NEXT) | instid1(VALU_DEP_4)
	v_lshlrev_b64_e32 v[8:9], 3, v[8:9]
	v_sub_nc_u32_e32 v55, v55, v35
	s_delay_alu instid0(VALU_DEP_4)
	v_mad_co_u64_u32 v[69:70], null, s16, v81, 0
	v_add_nc_u32_e32 v80, 0x271, v76
	v_mad_co_u64_u32 v[60:61], null, s16, v83, 0
	v_add_co_u32 v8, vcc_lo, s8, v8
	s_wait_alu 0xfffd
	v_add_co_ci_u32_e32 v9, vcc_lo, s9, v9, vcc_lo
	v_mad_u32_u24 v75, 0x753, v54, v55
	v_add_co_u32 v64, vcc_lo, s6, v6
	global_load_b128 v[50:53], v[8:9], off offset:4960
	ds_load_2addr_b32 v[8:9], v29 offset0:101 offset1:226
	s_wait_alu 0xfffd
	v_add_co_ci_u32_e32 v65, vcc_lo, s7, v7, vcc_lo
	v_mad_co_u64_u32 v[67:68], null, s16, v80, 0
	v_add_nc_u32_e32 v78, 0x4e2, v75
	v_add_co_u32 v86, vcc_lo, v64, v4
	s_wait_alu 0xfffd
	v_add_co_ci_u32_e32 v87, vcc_lo, v65, v5, vcc_lo
	s_delay_alu instid0(VALU_DEP_3) | instskip(SKIP_3) | instid1(VALU_DEP_3)
	v_mad_co_u64_u32 v[65:66], null, s16, v78, 0
	v_add_nc_u32_e32 v74, 0x4e2, v37
	v_mad_co_u64_u32 v[6:7], null, s16, v37, 0
	v_mad_co_u64_u32 v[4:5], null, s16, v73, 0
	;; [unrolled: 1-line block ×4, first 2 shown]
	v_add_nc_u32_e32 v77, 0x271, v75
	s_wait_dscnt 0x0
	v_mad_co_u64_u32 v[62:63], null, s17, v37, v[7:8]
	s_delay_alu instid0(VALU_DEP_4) | instskip(NEXT) | instid1(VALU_DEP_3)
	v_dual_mov_b32 v7, v36 :: v_dual_add_nc_u32 v84, 0x271, v82
	v_mad_co_u64_u32 v[63:64], null, s16, v77, 0
	v_mad_co_u64_u32 v[36:37], null, s17, v73, v[5:6]
	v_mov_b32_e32 v5, v55
	v_mov_b32_e32 v37, v57
	;; [unrolled: 1-line block ×3, first 2 shown]
	v_mad_co_u64_u32 v[73:74], null, s17, v74, v[7:8]
	s_delay_alu instid0(VALU_DEP_4)
	v_mad_co_u64_u32 v[74:75], null, s17, v75, v[5:6]
	v_mov_b32_e32 v55, v59
	v_mov_b32_e32 v59, v68
	v_mad_co_u64_u32 v[71:72], null, s16, v84, 0
	v_dual_mov_b32 v5, v36 :: v_dual_add_nc_u32 v66, 0x4e2, v82
	v_dual_mov_b32 v36, v73 :: v_dual_mov_b32 v7, v62
	ds_load_2addr_b32 v[28:29], v28 offset0:89 offset1:214
	v_lshlrev_b64_e32 v[4:5], 3, v[4:5]
	v_lshlrev_b64_e32 v[6:7], 3, v[6:7]
	s_delay_alu instid0(VALU_DEP_1) | instskip(SKIP_1) | instid1(VALU_DEP_2)
	v_add_co_u32 v6, vcc_lo, v86, v6
	s_wait_alu 0xfffd
	v_add_co_ci_u32_e32 v7, vcc_lo, v87, v7, vcc_lo
	s_delay_alu instid0(VALU_DEP_4)
	v_add_co_u32 v4, vcc_lo, v86, v4
	s_wait_alu 0xfffd
	v_add_co_ci_u32_e32 v5, vcc_lo, v87, v5, vcc_lo
	s_wait_loadcnt 0x4
	v_mad_co_u64_u32 v[75:76], null, s17, v76, v[37:38]
	v_mov_b32_e32 v37, v64
	s_delay_alu instid0(VALU_DEP_1)
	v_mad_co_u64_u32 v[76:77], null, s17, v77, v[37:38]
	v_mad_co_u64_u32 v[77:78], null, s17, v78, v[57:58]
	;; [unrolled: 1-line block ×3, first 2 shown]
	v_mov_b32_e32 v55, v74
	v_mov_b32_e32 v37, v70
	v_mad_co_u64_u32 v[79:80], null, s17, v80, v[59:60]
	v_dual_mov_b32 v57, v61 :: v_dual_add_nc_u32 v70, 0x271, v83
	v_mov_b32_e32 v64, v76
	s_delay_alu instid0(VALU_DEP_2) | instskip(NEXT) | instid1(VALU_DEP_4)
	v_mad_co_u64_u32 v[61:62], null, s17, v83, v[57:58]
	v_mov_b32_e32 v68, v79
	v_mad_co_u64_u32 v[80:81], null, s17, v81, v[37:38]
	v_dual_mov_b32 v37, v72 :: v_dual_add_nc_u32 v62, 0x4e2, v83
	v_mov_b32_e32 v57, v75
	v_mad_co_u64_u32 v[81:82], null, s16, v70, 0
	s_delay_alu instid0(VALU_DEP_3) | instskip(SKIP_3) | instid1(VALU_DEP_3)
	v_mad_co_u64_u32 v[72:73], null, s17, v84, v[37:38]
	v_mad_co_u64_u32 v[73:74], null, s16, v66, 0
	;; [unrolled: 1-line block ×3, first 2 shown]
	v_mov_b32_e32 v59, v78
	v_mov_b32_e32 v37, v74
	s_delay_alu instid0(VALU_DEP_1)
	v_mad_co_u64_u32 v[83:84], null, s17, v66, v[37:38]
	ds_load_2addr_b32 v[84:85], v26 offset0:107 offset1:232
	v_mov_b32_e32 v26, v82
	ds_load_b32 v37, v27
	v_dual_mov_b32 v27, v76 :: v_dual_mov_b32 v66, v77
	v_mov_b32_e32 v74, v83
	s_delay_alu instid0(VALU_DEP_2)
	v_mad_co_u64_u32 v[76:77], null, s17, v70, v[26:27]
	ds_load_2addr_b32 v[77:78], v23 offset0:95 offset1:220
	ds_load_b32 v79, v25
	ds_load_b32 v88, v24
	v_mov_b32_e32 v70, v80
	v_mov_b32_e32 v82, v76
	s_wait_dscnt 0x5
	v_mad_co_u64_u32 v[23:24], null, s17, v62, v[27:28]
	ds_load_2addr_b32 v[24:25], v20 offset0:113 offset1:238
	ds_load_b32 v89, v22
	ds_load_b32 v90, v21
	v_lshlrev_b64_e32 v[20:21], 3, v[35:36]
	v_lshlrev_b64_e32 v[26:27], 3, v[54:55]
	;; [unrolled: 1-line block ×5, first 2 shown]
	v_mov_b32_e32 v76, v23
	v_lshlrev_b64_e32 v[22:23], 3, v[63:64]
	v_lshlrev_b64_e32 v[58:59], 3, v[65:66]
	;; [unrolled: 1-line block ×5, first 2 shown]
	s_wait_loadcnt 0x3
	v_dual_mul_f32 v72, v12, v1 :: v_dual_mul_f32 v73, v19, v3
	v_dual_mul_f32 v1, v8, v1 :: v_dual_mul_f32 v74, v29, v3
	v_add_co_u32 v20, vcc_lo, v86, v20
	s_delay_alu instid0(VALU_DEP_3) | instskip(NEXT) | instid1(VALU_DEP_3)
	v_fma_f32 v3, v8, v0, -v72
	v_fmac_f32_e32 v1, v12, v0
	v_fma_f32 v8, v29, v2, -v73
	v_dual_fmac_f32 v74, v19, v2 :: v_dual_mul_f32 v19, v28, v41
	v_mul_f32_e32 v0, v17, v39
	v_mul_f32_e32 v2, v18, v41
	s_wait_dscnt 0x7
	v_dual_mul_f32 v12, v85, v39 :: v_dual_sub_f32 v73, v3, v8
	s_wait_alu 0xfffd
	v_add_co_ci_u32_e32 v21, vcc_lo, v87, v21, vcc_lo
	v_lshlrev_b64_e32 v[62:63], 3, v[69:70]
	v_lshlrev_b64_e32 v[70:71], 3, v[75:76]
	v_add_f32_e32 v29, v3, v8
	v_sub_f32_e32 v39, v1, v74
	s_wait_dscnt 0x4
	v_dual_add_f32 v41, v79, v3 :: v_dual_add_f32 v72, v1, v74
	v_dual_add_f32 v75, v34, v1 :: v_dual_fmac_f32 v12, v17, v38
	v_fma_f32 v76, v85, v38, -v0
	v_fma_f32 v28, v28, v40, -v2
	s_wait_loadcnt 0x2
	v_dual_fmac_f32 v19, v18, v40 :: v_dual_mul_f32 v18, v15, v45
	v_dual_mul_f32 v17, v16, v43 :: v_dual_mul_f32 v40, v78, v45
	v_dual_mul_f32 v38, v84, v43 :: v_dual_add_f32 v3, v41, v8
	v_add_co_u32 v26, vcc_lo, v86, v26
	s_wait_alu 0xfffd
	v_add_co_ci_u32_e32 v27, vcc_lo, v87, v27, vcc_lo
	v_add_co_u32 v35, vcc_lo, v86, v35
	v_fma_f32 v1, -0.5, v29, v79
	v_fma_f32 v0, -0.5, v72, v34
	s_wait_dscnt 0x1
	v_dual_add_f32 v2, v75, v74 :: v_dual_add_f32 v29, v89, v76
	v_add_f32_e32 v8, v76, v28
	v_sub_f32_e32 v34, v12, v19
	v_dual_add_f32 v41, v12, v19 :: v_dual_add_f32 v12, v33, v12
	v_sub_f32_e32 v43, v76, v28
	v_fma_f32 v45, v84, v42, -v17
	v_fma_f32 v72, v78, v44, -v18
	v_fmac_f32_e32 v38, v16, v42
	v_fmac_f32_e32 v40, v15, v44
	s_wait_loadcnt 0x1
	v_mul_f32_e32 v42, v11, v47
	v_dual_mul_f32 v44, v14, v49 :: v_dual_fmamk_f32 v15, v73, 0x3f5db3d7, v0
	v_mul_f32_e32 v47, v25, v47
	v_mul_f32_e32 v49, v77, v49
	s_wait_alu 0xfffd
	v_add_co_ci_u32_e32 v36, vcc_lo, v87, v36, vcc_lo
	v_add_co_u32 v54, vcc_lo, v86, v54
	s_wait_alu 0xfffd
	v_add_co_ci_u32_e32 v55, vcc_lo, v87, v55, vcc_lo
	v_add_co_u32 v56, vcc_lo, v86, v56
	v_dual_fmamk_f32 v16, v39, 0xbf5db3d7, v1 :: v_dual_add_f32 v29, v29, v28
	v_fmac_f32_e32 v1, 0x3f5db3d7, v39
	v_fma_f32 v18, -0.5, v8, v89
	v_fma_f32 v17, -0.5, v41, v33
	v_add_f32_e32 v8, v45, v72
	v_add_f32_e32 v39, v37, v45
	v_fmac_f32_e32 v0, 0xbf5db3d7, v73
	v_dual_add_f32 v28, v12, v19 :: v_dual_add_f32 v41, v38, v40
	v_sub_f32_e32 v45, v45, v72
	v_add_f32_e32 v73, v32, v38
	v_fma_f32 v25, v25, v46, -v42
	v_fma_f32 v42, v77, v48, -v44
	s_wait_loadcnt 0x0
	v_dual_fmac_f32 v47, v11, v46 :: v_dual_mul_f32 v44, v13, v53
	v_dual_fmac_f32 v49, v14, v48 :: v_dual_mul_f32 v46, v24, v51
	v_mul_f32_e32 v14, v10, v51
	v_dual_mul_f32 v48, v9, v53 :: v_dual_fmamk_f32 v11, v43, 0x3f5db3d7, v17
	s_wait_alu 0xfffd
	v_add_co_ci_u32_e32 v57, vcc_lo, v87, v57, vcc_lo
	v_add_co_u32 v22, vcc_lo, v86, v22
	s_wait_alu 0xfffd
	v_add_co_ci_u32_e32 v23, vcc_lo, v87, v23, vcc_lo
	v_sub_f32_e32 v19, v38, v40
	v_dual_fmamk_f32 v12, v34, 0xbf5db3d7, v18 :: v_dual_fmac_f32 v17, 0xbf5db3d7, v43
	v_fmac_f32_e32 v18, 0x3f5db3d7, v34
	v_fma_f32 v33, -0.5, v8, v37
	v_add_f32_e32 v37, v73, v40
	v_dual_add_f32 v38, v39, v72 :: v_dual_sub_f32 v51, v25, v42
	v_fma_f32 v32, -0.5, v41, v32
	v_dual_add_f32 v34, v25, v42 :: v_dual_sub_f32 v39, v47, v49
	v_dual_add_f32 v40, v88, v25 :: v_dual_add_f32 v43, v31, v47
	v_dual_add_f32 v41, v47, v49 :: v_dual_fmac_f32 v46, v10, v50
	v_fma_f32 v47, v24, v50, -v14
	v_fma_f32 v44, v9, v52, -v44
	v_dual_fmac_f32 v48, v13, v52 :: v_dual_fmamk_f32 v9, v19, 0xbf5db3d7, v33
	v_add_co_u32 v58, vcc_lo, v86, v58
	s_wait_alu 0xfffd
	v_add_co_ci_u32_e32 v59, vcc_lo, v87, v59, vcc_lo
	v_add_co_u32 v60, vcc_lo, v86, v60
	v_fma_f32 v14, -0.5, v34, v88
	v_fma_f32 v13, -0.5, v41, v31
	v_add_f32_e32 v10, v47, v44
	v_add_f32_e32 v41, v46, v48
	s_wait_alu 0xfffd
	v_add_co_ci_u32_e32 v61, vcc_lo, v87, v61, vcc_lo
	v_add_co_u32 v62, vcc_lo, v86, v62
	s_wait_alu 0xfffd
	v_add_co_ci_u32_e32 v63, vcc_lo, v87, v63, vcc_lo
	v_add_f32_e32 v24, v43, v49
	s_wait_dscnt 0x0
	v_add_f32_e32 v34, v90, v47
	v_add_f32_e32 v43, v30, v46
	v_lshlrev_b64_e32 v[68:69], 3, v[81:82]
	v_add_co_u32 v64, vcc_lo, v86, v64
	v_dual_fmac_f32 v33, 0x3f5db3d7, v19 :: v_dual_fmamk_f32 v8, v45, 0x3f5db3d7, v32
	v_dual_fmac_f32 v32, 0xbf5db3d7, v45 :: v_dual_add_f32 v25, v40, v42
	v_sub_f32_e32 v19, v46, v48
	v_sub_f32_e32 v45, v47, v44
	v_fma_f32 v31, -0.5, v10, v90
	v_fmamk_f32 v40, v39, 0xbf5db3d7, v14
	v_fma_f32 v30, -0.5, v41, v30
	s_wait_alu 0xfffd
	v_add_co_ci_u32_e32 v65, vcc_lo, v87, v65, vcc_lo
	v_add_co_u32 v66, vcc_lo, v86, v66
	v_add_f32_e32 v42, v34, v44
	v_add_f32_e32 v41, v43, v48
	s_wait_alu 0xfffd
	v_add_co_ci_u32_e32 v67, vcc_lo, v87, v67, vcc_lo
	v_fmamk_f32 v44, v19, 0xbf5db3d7, v31
	v_fmac_f32_e32 v31, 0x3f5db3d7, v19
	v_fmamk_f32 v43, v45, 0x3f5db3d7, v30
	v_fmac_f32_e32 v30, 0xbf5db3d7, v45
	v_add_co_u32 v68, vcc_lo, v86, v68
	s_wait_alu 0xfffd
	v_add_co_ci_u32_e32 v69, vcc_lo, v87, v69, vcc_lo
	v_dual_fmac_f32 v14, 0x3f5db3d7, v39 :: v_dual_fmamk_f32 v39, v51, 0x3f5db3d7, v13
	v_fmac_f32_e32 v13, 0xbf5db3d7, v51
	s_clause 0x9
	global_store_b64 v[6:7], v[41:42], off
	global_store_b64 v[4:5], v[30:31], off
	;; [unrolled: 1-line block ×10, first 2 shown]
	v_add_co_u32 v4, vcc_lo, v86, v70
	s_wait_alu 0xfffd
	v_add_co_ci_u32_e32 v5, vcc_lo, v87, v71, vcc_lo
	s_clause 0x4
	global_store_b64 v[64:65], v[17:18], off
	global_store_b64 v[66:67], v[11:12], off
	;; [unrolled: 1-line block ×5, first 2 shown]
.LBB0_15:
	s_nop 0
	s_sendmsg sendmsg(MSG_DEALLOC_VGPRS)
	s_endpgm
	.section	.rodata,"a",@progbits
	.p2align	6, 0x0
	.amdhsa_kernel fft_rtc_back_len1875_factors_5_5_5_5_3_wgs_250_tpt_125_halfLds_sp_op_CI_CI_sbrr_dirReg
		.amdhsa_group_segment_fixed_size 0
		.amdhsa_private_segment_fixed_size 0
		.amdhsa_kernarg_size 104
		.amdhsa_user_sgpr_count 2
		.amdhsa_user_sgpr_dispatch_ptr 0
		.amdhsa_user_sgpr_queue_ptr 0
		.amdhsa_user_sgpr_kernarg_segment_ptr 1
		.amdhsa_user_sgpr_dispatch_id 0
		.amdhsa_user_sgpr_private_segment_size 0
		.amdhsa_wavefront_size32 1
		.amdhsa_uses_dynamic_stack 0
		.amdhsa_enable_private_segment 0
		.amdhsa_system_sgpr_workgroup_id_x 1
		.amdhsa_system_sgpr_workgroup_id_y 0
		.amdhsa_system_sgpr_workgroup_id_z 0
		.amdhsa_system_sgpr_workgroup_info 0
		.amdhsa_system_vgpr_workitem_id 0
		.amdhsa_next_free_vgpr 95
		.amdhsa_next_free_sgpr 43
		.amdhsa_reserve_vcc 1
		.amdhsa_float_round_mode_32 0
		.amdhsa_float_round_mode_16_64 0
		.amdhsa_float_denorm_mode_32 3
		.amdhsa_float_denorm_mode_16_64 3
		.amdhsa_fp16_overflow 0
		.amdhsa_workgroup_processor_mode 1
		.amdhsa_memory_ordered 1
		.amdhsa_forward_progress 0
		.amdhsa_round_robin_scheduling 0
		.amdhsa_exception_fp_ieee_invalid_op 0
		.amdhsa_exception_fp_denorm_src 0
		.amdhsa_exception_fp_ieee_div_zero 0
		.amdhsa_exception_fp_ieee_overflow 0
		.amdhsa_exception_fp_ieee_underflow 0
		.amdhsa_exception_fp_ieee_inexact 0
		.amdhsa_exception_int_div_zero 0
	.end_amdhsa_kernel
	.text
.Lfunc_end0:
	.size	fft_rtc_back_len1875_factors_5_5_5_5_3_wgs_250_tpt_125_halfLds_sp_op_CI_CI_sbrr_dirReg, .Lfunc_end0-fft_rtc_back_len1875_factors_5_5_5_5_3_wgs_250_tpt_125_halfLds_sp_op_CI_CI_sbrr_dirReg
                                        ; -- End function
	.section	.AMDGPU.csdata,"",@progbits
; Kernel info:
; codeLenInByte = 12508
; NumSgprs: 45
; NumVgprs: 95
; ScratchSize: 0
; MemoryBound: 0
; FloatMode: 240
; IeeeMode: 1
; LDSByteSize: 0 bytes/workgroup (compile time only)
; SGPRBlocks: 5
; VGPRBlocks: 11
; NumSGPRsForWavesPerEU: 45
; NumVGPRsForWavesPerEU: 95
; Occupancy: 16
; WaveLimiterHint : 1
; COMPUTE_PGM_RSRC2:SCRATCH_EN: 0
; COMPUTE_PGM_RSRC2:USER_SGPR: 2
; COMPUTE_PGM_RSRC2:TRAP_HANDLER: 0
; COMPUTE_PGM_RSRC2:TGID_X_EN: 1
; COMPUTE_PGM_RSRC2:TGID_Y_EN: 0
; COMPUTE_PGM_RSRC2:TGID_Z_EN: 0
; COMPUTE_PGM_RSRC2:TIDIG_COMP_CNT: 0
	.text
	.p2alignl 7, 3214868480
	.fill 96, 4, 3214868480
	.type	__hip_cuid_3df44c873a5ad675,@object ; @__hip_cuid_3df44c873a5ad675
	.section	.bss,"aw",@nobits
	.globl	__hip_cuid_3df44c873a5ad675
__hip_cuid_3df44c873a5ad675:
	.byte	0                               ; 0x0
	.size	__hip_cuid_3df44c873a5ad675, 1

	.ident	"AMD clang version 19.0.0git (https://github.com/RadeonOpenCompute/llvm-project roc-6.4.0 25133 c7fe45cf4b819c5991fe208aaa96edf142730f1d)"
	.section	".note.GNU-stack","",@progbits
	.addrsig
	.addrsig_sym __hip_cuid_3df44c873a5ad675
	.amdgpu_metadata
---
amdhsa.kernels:
  - .args:
      - .actual_access:  read_only
        .address_space:  global
        .offset:         0
        .size:           8
        .value_kind:     global_buffer
      - .offset:         8
        .size:           8
        .value_kind:     by_value
      - .actual_access:  read_only
        .address_space:  global
        .offset:         16
        .size:           8
        .value_kind:     global_buffer
      - .actual_access:  read_only
        .address_space:  global
        .offset:         24
        .size:           8
        .value_kind:     global_buffer
      - .actual_access:  read_only
        .address_space:  global
        .offset:         32
        .size:           8
        .value_kind:     global_buffer
      - .offset:         40
        .size:           8
        .value_kind:     by_value
      - .actual_access:  read_only
        .address_space:  global
        .offset:         48
        .size:           8
        .value_kind:     global_buffer
      - .actual_access:  read_only
        .address_space:  global
        .offset:         56
        .size:           8
        .value_kind:     global_buffer
      - .offset:         64
        .size:           4
        .value_kind:     by_value
      - .actual_access:  read_only
        .address_space:  global
        .offset:         72
        .size:           8
        .value_kind:     global_buffer
      - .actual_access:  read_only
        .address_space:  global
        .offset:         80
        .size:           8
        .value_kind:     global_buffer
      - .actual_access:  read_only
        .address_space:  global
        .offset:         88
        .size:           8
        .value_kind:     global_buffer
      - .actual_access:  write_only
        .address_space:  global
        .offset:         96
        .size:           8
        .value_kind:     global_buffer
    .group_segment_fixed_size: 0
    .kernarg_segment_align: 8
    .kernarg_segment_size: 104
    .language:       OpenCL C
    .language_version:
      - 2
      - 0
    .max_flat_workgroup_size: 250
    .name:           fft_rtc_back_len1875_factors_5_5_5_5_3_wgs_250_tpt_125_halfLds_sp_op_CI_CI_sbrr_dirReg
    .private_segment_fixed_size: 0
    .sgpr_count:     45
    .sgpr_spill_count: 0
    .symbol:         fft_rtc_back_len1875_factors_5_5_5_5_3_wgs_250_tpt_125_halfLds_sp_op_CI_CI_sbrr_dirReg.kd
    .uniform_work_group_size: 1
    .uses_dynamic_stack: false
    .vgpr_count:     95
    .vgpr_spill_count: 0
    .wavefront_size: 32
    .workgroup_processor_mode: 1
amdhsa.target:   amdgcn-amd-amdhsa--gfx1201
amdhsa.version:
  - 1
  - 2
...

	.end_amdgpu_metadata
